;; amdgpu-corpus repo=ROCm/aiter kind=harvested arch=n/a opt=n/a

/root/src/amdgpu-assembly/repos/ROCm__aiter/hsa/gfx942/fmoe/gelu/fmoe_bf16_blockscaleFp8_g1u1_vs_gelu_1tg_ps_32x128.co:	file format elf64-amdgpu

Disassembly of section .text:

0000000000002e00 <_ZN5aiter50fmoe_bf16_blockscaleFp8_g1u1_vs_gelu_1tg_ps_32x128E>:
	v_lshrrev_b32_e32 v1, 10, v0                               // 000000002E00: 2002008A
	v_lshrrev_b32_e32 v2, 10, v1                               // 000000002E04: 2004028A
	v_and_b32_e32 v2, 0x3ff, v2                                // 000000002E08: 260404FF 000003FF
	v_and_b32_e32 v1, 0x3ff, v1                                // 000000002E10: 260202FF 000003FF
	v_and_b32_e32 v0, 0x3ff, v0                                // 000000002E18: 260000FF 000003FF
	v_lshrrev_b32_e32 v3, 6, v0                                // 000000002E20: 20060086
	v_and_b32_e32 v0, 63, v0                                   // 000000002E24: 260000BF
	s_mov_b32 s2, s2                                           // 000000002E28: BE820002
	s_mov_b32 s3, s3                                           // 000000002E2C: BE830003
	s_mov_b32 s4, s4                                           // 000000002E30: BE840004
	s_mov_b32 s99, s2                                          // 000000002E34: BEE30002
	v_readfirstlane_b32 s7, v3                                 // 000000002E38: 7E0E0503
	s_and_b32 s1, s1, 0xffff                                   // 000000002E3C: 8601FF01 0000FFFF
	s_mov_b32 s96, 0                                           // 000000002E44: BEE00080
	s_mov_b32 s97, 0                                           // 000000002E48: BEE10080
	s_mov_b32 s100, 0                                          // 000000002E4C: BEE40080
	s_load_dword s96, s[0:1], 0x1a0                            // 000000002E50: C0021800 000001A0
	s_load_dword s97, s[0:1], 0x1b0                            // 000000002E58: C0021840 000001B0
	s_waitcnt lgkmcnt(0)                                       // 000000002E60: BF8CC07F
	s_cmp_eq_u32 s96, 0                                        // 000000002E64: BF068060
	s_cbranch_scc1 label_005C                                  // 000000002E68: BF850041
	v_cvt_f32_u32_e32 v50, s97                                 // 000000002E6C: 7E640C61
	s_sub_i32 s60, 0, s97                                      // 000000002E70: 81BC6180
	v_rcp_iflag_f32_e32 v50, v50                               // 000000002E74: 7E644732
	s_nop 0                                                    // 000000002E78: BF800000
	v_mul_f32_e32 v50, 0x4f7ffffe, v50                         // 000000002E7C: 0A6464FF 4F7FFFFE
	v_cvt_u32_f32_e32 v50, v50                                 // 000000002E84: 7E640F32
	v_mul_lo_u32 v51, s60, v50                                 // 000000002E88: D2850033 0002643C
	v_mul_hi_u32 v51, v50, v51                                 // 000000002E90: D2860033 00026732
	v_add_u32_e32 v50, v50, v51                                // 000000002E98: 68646732
	v_mul_hi_u32 v50, s96, v50                                 // 000000002E9C: D2860032 00026460
	v_mul_lo_u32 v51, v50, s97                                 // 000000002EA4: D2850033 0000C332
	v_sub_u32_e32 v53, s96, v51                                // 000000002EAC: 6A6A6660
	v_add_u32_e32 v52, 1, v50                                  // 000000002EB0: 68686481
	v_cmp_le_u32_e32 vcc, s97, v53                             // 000000002EB4: 7D966A61
	v_subrev_u32_e32 v51, s97, v53                             // 000000002EB8: 6C666A61
	s_nop 0                                                    // 000000002EBC: BF800000
	v_cndmask_b32_e32 v50, v50, v52, vcc                       // 000000002EC0: 00646932
	v_cndmask_b32_e32 v53, v53, v51, vcc                       // 000000002EC4: 006A6735
	v_add_u32_e32 v51, 1, v50                                  // 000000002EC8: 68666481
	v_cmp_le_u32_e32 vcc, s97, v53                             // 000000002ECC: 7D966A61
	s_nop 1                                                    // 000000002ED0: BF800001
	v_cndmask_b32_e32 v53, v50, v51, vcc                       // 000000002ED4: 006A6732
	s_nop 3                                                    // 000000002ED8: BF800003
	v_readfirstlane_b32 s98, v53                               // 000000002EDC: 7EC40535
	s_nop 3                                                    // 000000002EE0: BF800003

0000000000002ee4 <label_0039>:
	s_mov_b32 s4, 1                                            // 000000002EE4: BE840081
	v_cvt_f32_u32_e32 v50, s97                                 // 000000002EE8: 7E640C61
	s_sub_i32 s60, 0, s97                                      // 000000002EEC: 81BC6180
	v_rcp_iflag_f32_e32 v50, v50                               // 000000002EF0: 7E644732
	s_nop 0                                                    // 000000002EF4: BF800000
	v_mul_f32_e32 v50, 0x4f7ffffe, v50                         // 000000002EF8: 0A6464FF 4F7FFFFE
	v_cvt_u32_f32_e32 v50, v50                                 // 000000002F00: 7E640F32
	v_mul_lo_u32 v51, s60, v50                                 // 000000002F04: D2850033 0002643C
	v_mul_hi_u32 v51, v50, v51                                 // 000000002F0C: D2860033 00026732
	v_add_u32_e32 v50, v50, v51                                // 000000002F14: 68646732
	v_mul_hi_u32 v50, s99, v50                                 // 000000002F18: D2860032 00026463
	v_mul_lo_u32 v51, v50, s97                                 // 000000002F20: D2850033 0000C332
	v_sub_u32_e32 v53, s99, v51                                // 000000002F28: 6A6A6663
	v_add_u32_e32 v52, 1, v50                                  // 000000002F2C: 68686481
	v_cmp_le_u32_e32 vcc, s97, v53                             // 000000002F30: 7D966A61
	v_subrev_u32_e32 v51, s97, v53                             // 000000002F34: 6C666A61
	s_nop 0                                                    // 000000002F38: BF800000
	v_cndmask_b32_e32 v50, v50, v52, vcc                       // 000000002F3C: 00646932
	v_cndmask_b32_e32 v53, v53, v51, vcc                       // 000000002F40: 006A6735
	v_add_u32_e32 v51, 1, v50                                  // 000000002F44: 68666481
	v_cmp_le_u32_e32 vcc, s97, v53                             // 000000002F48: 7D966A61
	s_nop 1                                                    // 000000002F4C: BF800001
	v_cndmask_b32_e32 v53, v50, v51, vcc                       // 000000002F50: 006A6732
	s_nop 3                                                    // 000000002F54: BF800003
	v_readfirstlane_b32 s3, v53                                // 000000002F58: 7E060535
	s_nop 3                                                    // 000000002F5C: BF800003
	s_mul_i32 s60, s3, s97                                     // 000000002F60: 923C6103
	s_sub_u32 s2, s99, s60                                     // 000000002F64: 80823C63
	s_mul_i32 s60, s98, s100                                   // 000000002F68: 923C6462
	s_add_i32 s3, s3, s60                                      // 000000002F6C: 81033C03

0000000000002f70 <label_005C>:
	s_and_b32 s1, s1, 0xffff                                   // 000000002F70: 8601FF01 0000FFFF
	s_load_dwordx2 s[8:9], s[0:1], 0x0                         // 000000002F78: C0060200 00000000
	s_load_dwordx2 s[20:21], s[0:1], 0x10                      // 000000002F80: C0060500 00000010
	s_load_dwordx2 s[24:25], s[0:1], 0x20                      // 000000002F88: C0060600 00000020
	s_load_dwordx2 s[50:51], s[0:1], 0x30                      // 000000002F90: C0060C80 00000030
	s_load_dwordx2 s[12:13], s[0:1], 0x40                      // 000000002F98: C0060300 00000040
	s_load_dwordx2 s[28:29], s[0:1], 0x50                      // 000000002FA0: C0060700 00000050
	s_load_dwordx2 s[32:33], s[0:1], 0x60                      // 000000002FA8: C0060800 00000060
	s_load_dwordx2 s[16:17], s[0:1], 0x70                      // 000000002FB0: C0060400 00000070
	s_load_dwordx2 s[36:37], s[0:1], 0x80                      // 000000002FB8: C0060900 00000080
	s_load_dwordx2 s[44:45], s[0:1], 0x90                      // 000000002FC0: C0060B00 00000090
	s_load_dwordx2 s[40:41], s[0:1], 0xa0                      // 000000002FC8: C0060A00 000000A0
	s_load_dwordx2 s[46:47], s[0:1], 0xb0                      // 000000002FD0: C0060B80 000000B0
	s_load_dword s64, s[0:1], 0xc0                             // 000000002FD8: C0021000 000000C0
	s_load_dword s65, s[0:1], 0xd0                             // 000000002FE0: C0021040 000000D0
	s_load_dword s67, s[0:1], 0xf0                             // 000000002FE8: C00210C0 000000F0
	s_load_dword s68, s[0:1], 0x100                            // 000000002FF0: C0021100 00000100
	s_load_dword s69, s[0:1], 0x110                            // 000000002FF8: C0021140 00000110
	s_load_dword s70, s[0:1], 0x120                            // 000000003000: C0021180 00000120
	s_load_dword s71, s[0:1], 0x130                            // 000000003008: C00211C0 00000130
	s_load_dword s72, s[0:1], 0x140                            // 000000003010: C0021200 00000140
	s_load_dword s73, s[0:1], 0x150                            // 000000003018: C0021240 00000150
	s_load_dword s74, s[0:1], 0x160                            // 000000003020: C0021280 00000160
	s_load_dword s75, s[0:1], 0x170                            // 000000003028: C00212C0 00000170
	s_load_dword s76, s[0:1], 0x180                            // 000000003030: C0021300 00000180
	s_mov_b32 s2, s2                                           // 000000003038: BE820002
	s_mov_b32 s3, s3                                           // 00000000303C: BE830003
	s_mov_b32 s4, s4                                           // 000000003040: BE840004
	s_waitcnt lgkmcnt(0)                                       // 000000003044: BF8CC07F
	s_and_b32 s51, s51, 0xffff                                 // 000000003048: 8633FF33 0000FFFF
	s_load_dword s66, s[50:51], 0x4                            // 000000003050: C0021099 00000004
	s_load_dword s50, s[50:51], 0x0                            // 000000003058: C0020C99 00000000
	s_waitcnt lgkmcnt(0)                                       // 000000003060: BF8CC07F
	s_and_b32 s45, s45, 0xffff                                 // 000000003064: 862DFF2D 0000FFFF
	s_and_b32 s47, s47, 0xffff                                 // 00000000306C: 862FFF2F 0000FFFF
	s_and_b32 s9, s9, 0xffff                                   // 000000003074: 8609FF09 0000FFFF
	s_mul_i32 s60, s66, s68                                    // 00000000307C: 923C4442
	s_mul_i32 s61, s66, 4                                      // 000000003080: 923D8442
	s_mov_b32 s22, s60                                         // 000000003084: BE96003C
	s_mov_b32 s26, -16                                         // 000000003088: BE9A00D0
	s_mov_b32 s14, -16                                         // 00000000308C: BE8E00D0
	s_mov_b32 s42, -16                                         // 000000003090: BEAA00D0
	s_mov_b32 s30, -16                                         // 000000003094: BE9E00D0
	s_mov_b32 s34, -16                                         // 000000003098: BEA200D0
	s_mov_b32 s38, -16                                         // 00000000309C: BEA600D0
	s_mov_b32 s18, -16                                         // 0000000030A0: BE9200D0
	s_mov_b32 s23, 0x20000                                     // 0000000030A4: BE9700FF 00020000
	s_mov_b32 s27, 0x20000                                     // 0000000030AC: BE9B00FF 00020000
	s_mov_b32 s15, 0x20000                                     // 0000000030B4: BE8F00FF 00020000
	s_mov_b32 s43, 0x20000                                     // 0000000030BC: BEAB00FF 00020000
	s_mov_b32 s31, 0x20000                                     // 0000000030C4: BE9F00FF 00020000
	s_mov_b32 s35, 0x20000                                     // 0000000030CC: BEA300FF 00020000
	s_mov_b32 s39, 0x20000                                     // 0000000030D4: BEA700FF 00020000
	s_mov_b32 s19, 0x20000                                     // 0000000030DC: BE9300FF 00020000
	s_and_b32 s21, s21, 0xffff                                 // 0000000030E4: 8615FF15 0000FFFF
	s_and_b32 s25, s25, 0xffff                                 // 0000000030EC: 8619FF19 0000FFFF
	s_and_b32 s13, s13, 0xffff                                 // 0000000030F4: 860DFF0D 0000FFFF
	s_and_b32 s41, s41, 0xffff                                 // 0000000030FC: 8629FF29 0000FFFF
	s_and_b32 s29, s29, 0xffff                                 // 000000003104: 861DFF1D 0000FFFF
	s_and_b32 s33, s33, 0xffff                                 // 00000000310C: 8621FF21 0000FFFF
	s_and_b32 s37, s37, 0xffff                                 // 000000003114: 8625FF25 0000FFFF
	s_and_b32 s17, s17, 0xffff                                 // 00000000311C: 8611FF11 0000FFFF
	s_or_b32 s21, s21, 0x40000                                 // 000000003124: 8715FF15 00040000
	s_or_b32 s25, s25, 0x40000                                 // 00000000312C: 8719FF19 00040000
	s_or_b32 s13, s13, 0x40000                                 // 000000003134: 870DFF0D 00040000
	s_or_b32 s41, s41, 0x40000                                 // 00000000313C: 8729FF29 00040000
	s_or_b32 s29, s29, 0x40000                                 // 000000003144: 871DFF1D 00040000
	s_or_b32 s33, s33, 0x40000                                 // 00000000314C: 8721FF21 00040000
	s_or_b32 s37, s37, 0x40000                                 // 000000003154: 8725FF25 00040000
	s_or_b32 s17, s17, 0x40000                                 // 00000000315C: 8711FF11 00040000
	v_accvgpr_write_b32 a63, 0                                 // 000000003164: D3D9403F 18000080
	v_mov_b32_e32 v255, 0                                      // 00000000316C: 7FFE0280
	s_waitcnt lgkmcnt(0)                                       // 000000003170: BF8CC07F
	s_mul_i32 s60, s3, 32                                      // 000000003174: 923CA003
	s_cmp_lt_i32 s60, s50                                      // 000000003178: BF04323C
	s_cbranch_scc0 label_13B4                                  // 00000000317C: BF8412D4
	s_mov_b32 s80, 0                                           // 000000003180: BED00080
	s_mov_b32 s81, s64                                         // 000000003184: BED10040
	s_mul_i32 s60, s3, 4                                       // 000000003188: 923C8403
	s_add_u32 s46, s60, s46                                    // 00000000318C: 802E2E3C
	s_addc_u32 s47, 0, s47                                     // 000000003190: 822F2F80
	s_load_dword s5, s[46:47], 0x0                             // 000000003194: C0020157 00000000
	s_mul_i32 s60, s3, 32                                      // 00000000319C: 923CA003
	s_mul_i32 s60, 4, s60                                      // 0000000031A0: 923C3C84
	v_and_b32_e32 v50, 15, v0                                  // 0000000031A4: 2664008F
	v_lshlrev_b32_e32 v50, 2, v50                              // 0000000031A8: 24646482
	v_add_u32_e32 v50, s60, v50                                // 0000000031AC: 6864643C
	v_mov_b32_e32 v51, 0                                       // 0000000031B0: 7E660280
	global_load_dword v7, v50, s[44:45]                        // 0000000031B4: DC508000 072C0032
	v_add_u32_e32 v50, 64, v50                                 // 0000000031BC: 686464C0
	global_load_dword v8, v50, s[44:45]                        // 0000000031C0: DC508000 082C0032
	s_mul_i32 s60, s3, 32                                      // 0000000031C8: 923CA003
	s_add_u32 s60, s7, s60                                     // 0000000031CC: 803C3C07
	s_mul_i32 s60, 4, s60                                      // 0000000031D0: 923C3C84
	s_add_u32 s44, s60, s44                                    // 0000000031D4: 802C2C3C
	s_addc_u32 s45, 0, s45                                     // 0000000031D8: 822D2D80
	s_load_dword s82, s[44:45], 0x0                            // 0000000031DC: C0021496 00000000
	s_load_dword s83, s[44:45], 0x10                           // 0000000031E4: C00214D6 00000010
	s_load_dword s84, s[44:45], 0x20                           // 0000000031EC: C0021516 00000020
	s_load_dword s85, s[44:45], 0x30                           // 0000000031F4: C0021556 00000030
	s_load_dword s86, s[44:45], 0x40                           // 0000000031FC: C0021596 00000040
	s_load_dword s87, s[44:45], 0x50                           // 000000003204: C00215D6 00000050
	s_load_dword s88, s[44:45], 0x60                           // 00000000320C: C0021616 00000060
	s_load_dword s89, s[44:45], 0x70                           // 000000003214: C0021656 00000070
	s_waitcnt lgkmcnt(0)                                       // 00000000321C: BF8CC07F
	v_lshlrev_b32_e32 v50, 2, v0                               // 000000003220: 24640082
	s_and_b32 s82, s82, 0xffffff                               // 000000003224: 8652FF52 00FFFFFF
	s_mul_i32 s60, s82, s68                                    // 00000000322C: 923C4452
	v_add_u32_e64 v32, v50, s60                                // 000000003230: D1340020 00007932
	s_and_b32 s83, s83, 0xffffff                               // 000000003238: 8653FF53 00FFFFFF
	s_mul_i32 s60, s83, s68                                    // 000000003240: 923C4453
	v_add_u32_e64 v33, v50, s60                                // 000000003244: D1340021 00007932
	s_and_b32 s84, s84, 0xffffff                               // 00000000324C: 8654FF54 00FFFFFF
	s_mul_i32 s60, s84, s68                                    // 000000003254: 923C4454
	v_add_u32_e64 v34, v50, s60                                // 000000003258: D1340022 00007932
	s_and_b32 s85, s85, 0xffffff                               // 000000003260: 8655FF55 00FFFFFF
	s_mul_i32 s60, s85, s68                                    // 000000003268: 923C4455
	v_add_u32_e64 v35, v50, s60                                // 00000000326C: D1340023 00007932
	s_and_b32 s86, s86, 0xffffff                               // 000000003274: 8656FF56 00FFFFFF
	s_mul_i32 s60, s86, s68                                    // 00000000327C: 923C4456
	v_add_u32_e64 v36, v50, s60                                // 000000003280: D1340024 00007932
	s_and_b32 s87, s87, 0xffffff                               // 000000003288: 8657FF57 00FFFFFF
	s_mul_i32 s60, s87, s68                                    // 000000003290: 923C4457
	v_add_u32_e64 v37, v50, s60                                // 000000003294: D1340025 00007932
	s_and_b32 s88, s88, 0xffffff                               // 00000000329C: 8658FF58 00FFFFFF
	s_mul_i32 s60, s88, s68                                    // 0000000032A4: 923C4458
	v_add_u32_e64 v38, v50, s60                                // 0000000032A8: D1340026 00007932
	s_and_b32 s89, s89, 0xffffff                               // 0000000032B0: 8659FF59 00FFFFFF
	s_mul_i32 s60, s89, s68                                    // 0000000032B8: 923C4459
	v_add_u32_e64 v39, v50, s60                                // 0000000032BC: D1340027 00007932
	v_lshlrev_b32_e32 v50, 2, v0                               // 0000000032C4: 24640082
	s_mul_i32 s60, s82, s71                                    // 0000000032C8: 923C4752
	v_add_u32_e64 v80, v50, s60                                // 0000000032CC: D1340050 00007932
	v_mov_b32_e32 v81, 0                                       // 0000000032D4: 7EA20280
	s_mul_i32 s60, s83, s71                                    // 0000000032D8: 923C4753
	v_add_u32_e64 v82, v50, s60                                // 0000000032DC: D1340052 00007932
	v_mov_b32_e32 v83, 0                                       // 0000000032E4: 7EA60280
	s_mul_i32 s60, s84, s71                                    // 0000000032E8: 923C4754
	v_add_u32_e64 v84, v50, s60                                // 0000000032EC: D1340054 00007932
	v_mov_b32_e32 v85, 0                                       // 0000000032F4: 7EAA0280
	s_mul_i32 s60, s85, s71                                    // 0000000032F8: 923C4755
	v_add_u32_e64 v86, v50, s60                                // 0000000032FC: D1340056 00007932
	v_mov_b32_e32 v87, 0                                       // 000000003304: 7EAE0280
	s_mul_i32 s60, s86, s71                                    // 000000003308: 923C4756
	v_add_u32_e64 v88, v50, s60                                // 00000000330C: D1340058 00007932
	v_mov_b32_e32 v89, 0                                       // 000000003314: 7EB20280
	s_mul_i32 s60, s87, s71                                    // 000000003318: 923C4757
	v_add_u32_e64 v90, v50, s60                                // 00000000331C: D134005A 00007932
	v_mov_b32_e32 v91, 0                                       // 000000003324: 7EB60280
	s_mul_i32 s60, s88, s71                                    // 000000003328: 923C4758
	v_add_u32_e64 v92, v50, s60                                // 00000000332C: D134005C 00007932
	v_mov_b32_e32 v93, 0                                       // 000000003334: 7EBA0280
	s_mul_i32 s60, s89, s71                                    // 000000003338: 923C4759
	v_add_u32_e64 v94, v50, s60                                // 00000000333C: D134005E 00007932
	v_mov_b32_e32 v95, 0                                       // 000000003344: 7EBE0280
	s_mul_i32 s60, s7, 0x820                                   // 000000003348: 923CFF07 00000820
	s_add_u32 s50, 0, s60                                      // 000000003350: 80323C80
	s_add_u32 s51, 0x2480, s50                                 // 000000003354: 803332FF 00002480
	v_lshrrev_b32_e32 v50, 4, v0                               // 00000000335C: 20640084
	v_lshlrev_b32_e32 v51, 2, v50                              // 000000003360: 24666482
	v_and_b32_e32 v50, 15, v0                                  // 000000003364: 2664008F
	v_lshrrev_b32_e32 v52, 2, v50                              // 000000003368: 20686482
	v_lshlrev_b32_e32 v52, 6, v52                              // 00000000336C: 24686886
	v_add_u32_e32 v51, v52, v51                                // 000000003370: 68666734
	v_and_b32_e32 v50, 3, v0                                   // 000000003374: 26640083
	v_mul_i32_i24_e32 v52, 0x208, v50                          // 000000003378: 0C6864FF 00000208
	v_add_u32_e32 v51, v52, v51                                // 000000003380: 68666734
	v_lshlrev_b32_e32 v2, 2, v51                               // 000000003384: 24046682
	s_mul_i32 s60, s2, 0x80                                    // 000000003388: 923CFF02 00000080
	s_mul_i32 s60, s60, s69                                    // 000000003390: 923C453C
	s_mul_i32 s61, s5, s72                                     // 000000003394: 923D4805
	s_add_u32 s60, s61, s60                                    // 000000003398: 803C3C3D
	s_add_u32 s24, s60, s24                                    // 00000000339C: 8018183C
	s_addc_u32 s25, 0, s25                                     // 0000000033A0: 82191980
	s_mul_i32 s60, s7, 16                                      // 0000000033A4: 923C9007
	s_mul_i32 s60, s60, s69                                    // 0000000033A8: 923C453C
	v_lshlrev_b32_e32 v40, 4, v0                               // 0000000033AC: 24500084
	v_add_u32_e32 v40, s60, v40                                // 0000000033B0: 6850503C
	s_mul_i32 s60, 64, s69                                     // 0000000033B4: 923C45C0
	v_add_u32_e32 v41, s60, v40                                // 0000000033B8: 6852503C
	s_mov_b32 s92, s24                                         // 0000000033BC: BEDC0018
	s_mov_b32 s93, s25                                         // 0000000033C0: BEDD0019
	s_mov_b32 s94, s26                                         // 0000000033C4: BEDE001A
	s_mov_b32 s95, s27                                         // 0000000033C8: BEDF001B
	s_mul_i32 s60, s69, s65                                    // 0000000033CC: 923C4145
	s_add_u32 s92, s60, s92                                    // 0000000033D0: 805C5C3C
	s_addc_u32 s93, 0, s93                                     // 0000000033D4: 825D5D80
	s_mul_i32 s60, s2, 0x800                                   // 0000000033D8: 923CFF02 00000800
	s_mul_i32 s61, s5, s73                                     // 0000000033E0: 923D4905
	s_add_u32 s60, s61, s60                                    // 0000000033E4: 803C3C3D
	s_add_u32 s12, s60, s12                                    // 0000000033E8: 800C0C3C
	s_addc_u32 s13, 0, s13                                     // 0000000033EC: 820D0D80
	s_mul_i32 s60, s7, 16                                      // 0000000033F0: 923C9007
	s_mul_i32 s60, s60, s70                                    // 0000000033F4: 923C463C
	v_lshlrev_b32_e32 v42, 4, v0                               // 0000000033F8: 24540084
	v_add_u32_e32 v42, s60, v42                                // 0000000033FC: 6854543C
	s_mul_i32 s60, 64, s70                                     // 000000003400: 923C46C0
	v_add_u32_e32 v43, s60, v42                                // 000000003404: 6856543C
	v_add_u32_e32 v44, s60, v43                                // 000000003408: 6858563C
	v_add_u32_e32 v45, s60, v44                                // 00000000340C: 685A583C
	s_mul_i32 s60, s70, 0x100                                  // 000000003410: 923CFF46 00000100
	s_mov_b32 s78, 0x400                                       // 000000003418: BECE00FF 00000400
	s_mul_i32 s61, s78, 1                                      // 000000003420: 923D814E
	s_sub_u32 s56, s60, s61                                    // 000000003424: 80B83D3C
	s_mul_i32 s60, s3, 32                                      // 000000003428: 923CA003
	s_mul_i32 s60, 4, s60                                      // 00000000342C: 923C3C84
	s_add_u32 s40, s60, s40                                    // 000000003430: 8028283C
	s_addc_u32 s41, 0, s41                                     // 000000003434: 82292980
	v_and_b32_e32 v50, 15, v0                                  // 000000003438: 2664008F
	v_lshlrev_b32_e32 v9, 2, v50                               // 00000000343C: 24126482
	v_add_u32_e32 v10, 64, v9                                  // 000000003440: 681412C0
	s_lshr_b32 s60, s64, 7                                     // 000000003444: 8F3C8740
	s_mul_i32 s61, s60, 4                                      // 000000003448: 923D843C
	v_and_b32_e64 v11, v0, 1                                   // 00000000344C: D113000B 00010300
	v_mul_i32_i24_e64 v11, v11, s61                            // 000000003454: D106000B 00007B0B
	v_mov_b32_e32 v11, 0                                       // 00000000345C: 7E160280
	v_and_b32_e64 v50, v0, 3                                   // 000000003460: D1130032 00010700
	v_lshrrev_b32_e32 v50, 1, v50                              // 000000003468: 20646481
	v_mul_i32_i24_e32 v50, 4, v50                              // 00000000346C: 0C646484
	v_add_u32_e32 v11, v11, v50                                // 000000003470: 6816650B
	s_lshr_b32 s60, s65, 7                                     // 000000003474: 8F3C8741
	s_mul_i32 s60, s60, s61                                    // 000000003478: 923C3D3C
	v_add_u32_e64 v13, v11, s60                                // 00000000347C: D134000D 0000790B
	s_mov_b32 s4, 8                                            // 000000003484: BE840088
	s_mul_i32 s60, s2, 1                                       // 000000003488: 923C8102
	s_mul_i32 s60, s60, s61                                    // 00000000348C: 923C3D3C
	s_mul_i32 s61, s5, s74                                     // 000000003490: 923D4A05
	s_add_u32 s61, s61, s60                                    // 000000003494: 803D3C3D
	s_add_u32 s32, s61, s32                                    // 000000003498: 8020203D
	s_addc_u32 s33, 0, s33                                     // 00000000349C: 82212180
	s_lshr_b32 s60, s65, 7                                     // 0000000034A0: 8F3C8741
	s_mul_i32 s61, s60, 4                                      // 0000000034A4: 923D843C
	s_mul_i32 s60, s2, 1                                       // 0000000034A8: 923C8102
	s_mul_i32 s60, s60, 4                                      // 0000000034AC: 923C843C
	v_and_b32_e64 v6, v0, 1                                    // 0000000034B0: D1130006 00010300
	v_mul_i32_i24_e64 v6, v6, s61                              // 0000000034B8: D1060006 00007B06
	v_and_b32_e64 v50, v0, 3                                   // 0000000034C0: D1130032 00010700
	v_lshrrev_b32_e32 v50, 1, v50                              // 0000000034C8: 20646481
	v_mul_i32_i24_e32 v50, 4, v50                              // 0000000034CC: 0C646484
	v_mov_b32_e32 v50, 0                                       // 0000000034D0: 7E640280
	v_add_i32 v6, v6, v50                                      // 0000000034D4: D29C0006 00026506
	v_add_i32 v6, v6, s60                                      // 0000000034DC: D29C0006 00007906
	s_mul_i32 s60, s5, s75                                     // 0000000034E4: 923C4B05
	s_add_u32 s16, s60, s16                                    // 0000000034E8: 8010103C
	s_addc_u32 s17, 0, s17                                     // 0000000034EC: 82111180
	s_mov_b32 s57, 0x100                                       // 0000000034F0: BEB900FF 00000100
	s_mov_b32 s58, 0x1000                                      // 0000000034F8: BEBA00FF 00001000
	s_mul_i32 s79, 2, s61                                      // 000000003500: 924F3D82
	s_mov_b32 s59, 0x200                                       // 000000003504: BEBB00FF 00000200
	s_mov_b32 s90, s58                                         // 00000000350C: BEDA003A
	s_mov_b32 s52, 0x7060302                                   // 000000003510: BEB400FF 07060302
	s_mov_b32 s53, 0x400                                       // 000000003518: BEB500FF 00000400
	s_mov_b32 s54, 0x40100                                     // 000000003520: BEB600FF 00040100
	s_mov_b32 s55, 0x4020100                                   // 000000003528: BEB700FF 04020100
	s_mov_b32 s6, 0x3fb8aa3b                                   // 000000003530: BE8600FF 3FB8AA3B
	s_mov_b32 s77, 0xbd92220c                                  // 000000003538: BECD00FF BD92220C
	s_mov_b32 m0, s50                                          // 000000003540: BEFC0032
	v_mov_b32_e32 v1, 0xbfcc4231                               // 000000003544: 7E0202FF BFCC4231
	v_mov_b32_e32 v47, 0xffff0000                              // 00000000354C: 7E5E02FF FFFF0000
	v_mov_b32_e32 v48, 0x7fff0000                              // 000000003554: 7E6002FF 7FFF0000
	v_mov_b32_e32 v49, 0x7fff                                  // 00000000355C: 7E6202FF 00007FFF
	s_waitcnt vmcnt(0) expcnt(0) lgkmcnt(0)                    // 000000003564: BF8C0000
	v_and_b32_e32 v7, 0xffffff, v7                             // 000000003568: 260E0EFF 00FFFFFF
	v_and_b32_e32 v8, 0xffffff, v8                             // 000000003570: 261010FF 00FFFFFF
	v_lshlrev_b32_e32 v7, 2, v7                                // 000000003578: 240E0E82
	v_lshlrev_b32_e32 v8, 2, v8                                // 00000000357C: 24101082
	s_lshr_b32 s60, s7, 1                                      // 000000003580: 8F3C8107
	s_lshl_b32 s3, s66, 2                                      // 000000003584: 8E038242
	s_mul_i32 s60, s60, s3                                     // 000000003588: 923C033C
	s_add_u32 s28, s28, s60                                    // 00000000358C: 801C3C1C
	s_addc_u32 s29, 0, s29                                     // 000000003590: 821D1D80
	s_mov_b32 s30, s3                                          // 000000003594: BE9E0003
	s_lshl_b32 s3, s3, 1                                       // 000000003598: 8E038103
	s_and_b32 s61, s7, 1                                       // 00000000359C: 863D8107
	s_cmp_eq_u32 s61, 1                                        // 0000000035A0: BF06813D
	s_cselect_b32 s60, 0, 1                                    // 0000000035A4: 853C8180
	v_mul_i32_i24_e64 v50, v7, s60                             // 0000000035A8: D1060032 00007907
	v_mul_i32_i24_e64 v51, v8, s61                             // 0000000035B0: D1060033 00007B08
	v_add_u32_e32 v50, v50, v51                                // 0000000035B8: 68646732
	v_mov_b32_e32 v7, v50                                      // 0000000035BC: 7E0E0332
	s_mul_i32 s60, s7, 0x100                                   // 0000000035C0: 923CFF07 00000100
	s_sub_u32 s61, 4, s7                                       // 0000000035C8: 80BD0784
	s_mul_i32 s61, s61, 0x820                                  // 0000000035CC: 923DFF3D 00000820
	s_add_u32 s76, s60, s61                                    // 0000000035D4: 804C3D3C
	v_lshlrev_b32_e32 v3, 2, v0                                // 0000000035D8: 24060082
	buffer_load_dword v23, v11, s[32:35], 0 offen              // 0000000035DC: E0501000 8008170B
	buffer_load_dword v25, v9, s[40:43], 0 offen               // 0000000035E4: E0501000 800A1909
	buffer_load_dword v26, v10, s[40:43], 0 offen              // 0000000035EC: E0501000 800A1A0A
	buffer_load_dword v32, s[20:23], 0 offen lds               // 0000000035F4: E0511000 80050020
	s_add_u32 m0, 0x100, s50                                   // 0000000035FC: 807C32FF 00000100
	buffer_load_dword v33, s[20:23], 0 offen lds               // 000000003604: E0511000 80050021
	s_add_u32 m0, 0x200, s50                                   // 00000000360C: 807C32FF 00000200
	buffer_load_dword v34, s[20:23], 0 offen lds               // 000000003614: E0511000 80050022
	s_add_u32 m0, 0x300, s50                                   // 00000000361C: 807C32FF 00000300
	buffer_load_dword v35, s[20:23], 0 offen lds               // 000000003624: E0511000 80050023
	s_add_u32 m0, 0x400, s50                                   // 00000000362C: 807C32FF 00000400
	buffer_load_dword v36, s[20:23], 0 offen lds               // 000000003634: E0511000 80050024
	s_add_u32 m0, 0x500, s50                                   // 00000000363C: 807C32FF 00000500
	buffer_load_dword v37, s[20:23], 0 offen lds               // 000000003644: E0511000 80050025
	s_add_u32 m0, 0x600, s50                                   // 00000000364C: 807C32FF 00000600
	buffer_load_dword v38, s[20:23], 0 offen lds               // 000000003654: E0511000 80050026
	s_add_u32 m0, 0x700, s50                                   // 00000000365C: 807C32FF 00000700
	buffer_load_dword v39, s[20:23], 0 offen lds               // 000000003664: E0511000 80050027
	s_add_u32 m0, s50, s76                                     // 00000000366C: 807C4C32
	buffer_load_dword v7, s[28:31], 0 offen lds                // 000000003670: E0511000 80070007
	s_add_u32 m0, 0, s51                                       // 000000003678: 807C3380
	s_add_u32 s20, s57, s20                                    // 00000000367C: 80141439
	s_addc_u32 s21, 0, s21                                     // 000000003680: 82151580
	s_add_u32 s28, s3, s28                                     // 000000003684: 801C1C03
	s_addc_u32 s29, 0, s29                                     // 000000003688: 821D1D80
	buffer_load_dwordx4 a[0:3], v40, s[24:27], 0 offen         // 00000000368C: E05C1000 80860028
	buffer_load_dwordx4 a[4:7], v40, s[24:27], 0 offen offset:1024// 000000003694: E05C1400 80860428
	buffer_load_dwordx4 a[16:19], v41, s[24:27], 0 offen       // 00000000369C: E05C1000 80861029
	buffer_load_dwordx4 a[20:23], v41, s[24:27], 0 offen offset:1024// 0000000036A4: E05C1400 80861429
	buffer_load_dwordx4 a[8:11], v40, s[24:27], 0 offen offset:2048// 0000000036AC: E05C1800 80860828
	buffer_load_dwordx4 a[12:15], v40, s[24:27], 0 offen offset:3072// 0000000036B4: E05C1C00 80860C28
	buffer_load_dwordx4 a[24:27], v41, s[24:27], 0 offen offset:2048// 0000000036BC: E05C1800 80861829
	buffer_load_dwordx4 a[28:31], v41, s[24:27], 0 offen offset:3072// 0000000036C4: E05C1C00 80861C29
	s_add_u32 s24, s58, s24                                    // 0000000036CC: 8018183A
	s_addc_u32 s25, 0, s25                                     // 0000000036D0: 82191980
	v_mov_b32_e32 v128, 0                                      // 0000000036D4: 7F000280
	v_mov_b32_e32 v64, 0                                       // 0000000036D8: 7E800280
	v_mov_b32_e32 v129, 0                                      // 0000000036DC: 7F020280
	v_mov_b32_e32 v65, 0                                       // 0000000036E0: 7E820280
	v_mov_b32_e32 v130, 0                                      // 0000000036E4: 7F040280
	v_mov_b32_e32 v66, 0                                       // 0000000036E8: 7E840280
	v_mov_b32_e32 v131, 0                                      // 0000000036EC: 7F060280
	v_mov_b32_e32 v67, 0                                       // 0000000036F0: 7E860280
	v_mov_b32_e32 v132, 0                                      // 0000000036F4: 7F080280
	v_mov_b32_e32 v68, 0                                       // 0000000036F8: 7E880280
	v_mov_b32_e32 v133, 0                                      // 0000000036FC: 7F0A0280
	v_mov_b32_e32 v69, 0                                       // 000000003700: 7E8A0280
	v_mov_b32_e32 v134, 0                                      // 000000003704: 7F0C0280
	v_mov_b32_e32 v70, 0                                       // 000000003708: 7E8C0280
	v_mov_b32_e32 v135, 0                                      // 00000000370C: 7F0E0280
	v_mov_b32_e32 v71, 0                                       // 000000003710: 7E8E0280
	v_mov_b32_e32 v136, 0                                      // 000000003714: 7F100280
	v_mov_b32_e32 v72, 0                                       // 000000003718: 7E900280
	v_mov_b32_e32 v137, 0                                      // 00000000371C: 7F120280
	v_mov_b32_e32 v73, 0                                       // 000000003720: 7E920280
	v_mov_b32_e32 v138, 0                                      // 000000003724: 7F140280
	v_mov_b32_e32 v74, 0                                       // 000000003728: 7E940280
	v_mov_b32_e32 v139, 0                                      // 00000000372C: 7F160280
	v_mov_b32_e32 v75, 0                                       // 000000003730: 7E960280
	v_mov_b32_e32 v140, 0                                      // 000000003734: 7F180280
	v_mov_b32_e32 v76, 0                                       // 000000003738: 7E980280
	v_mov_b32_e32 v141, 0                                      // 00000000373C: 7F1A0280
	v_mov_b32_e32 v77, 0                                       // 000000003740: 7E9A0280
	v_mov_b32_e32 v142, 0                                      // 000000003744: 7F1C0280
	v_mov_b32_e32 v78, 0                                       // 000000003748: 7E9C0280
	v_mov_b32_e32 v143, 0                                      // 00000000374C: 7F1E0280
	v_mov_b32_e32 v79, 0                                       // 000000003750: 7E9E0280
	v_mov_b32_e32 v144, 0                                      // 000000003754: 7F200280
	v_mov_b32_e32 v80, 0                                       // 000000003758: 7EA00280
	v_mov_b32_e32 v145, 0                                      // 00000000375C: 7F220280
	v_mov_b32_e32 v81, 0                                       // 000000003760: 7EA20280
	v_mov_b32_e32 v146, 0                                      // 000000003764: 7F240280
	v_mov_b32_e32 v82, 0                                       // 000000003768: 7EA40280
	v_mov_b32_e32 v147, 0                                      // 00000000376C: 7F260280
	v_mov_b32_e32 v83, 0                                       // 000000003770: 7EA60280
	v_mov_b32_e32 v148, 0                                      // 000000003774: 7F280280
	v_mov_b32_e32 v84, 0                                       // 000000003778: 7EA80280
	v_mov_b32_e32 v149, 0                                      // 00000000377C: 7F2A0280
	v_mov_b32_e32 v85, 0                                       // 000000003780: 7EAA0280
	v_mov_b32_e32 v150, 0                                      // 000000003784: 7F2C0280
	v_mov_b32_e32 v86, 0                                       // 000000003788: 7EAC0280
	v_mov_b32_e32 v151, 0                                      // 00000000378C: 7F2E0280
	v_mov_b32_e32 v87, 0                                       // 000000003790: 7EAE0280
	v_mov_b32_e32 v152, 0                                      // 000000003794: 7F300280
	v_mov_b32_e32 v88, 0                                       // 000000003798: 7EB00280
	v_mov_b32_e32 v153, 0                                      // 00000000379C: 7F320280
	v_mov_b32_e32 v89, 0                                       // 0000000037A0: 7EB20280
	v_mov_b32_e32 v154, 0                                      // 0000000037A4: 7F340280
	v_mov_b32_e32 v90, 0                                       // 0000000037A8: 7EB40280
	v_mov_b32_e32 v155, 0                                      // 0000000037AC: 7F360280
	v_mov_b32_e32 v91, 0                                       // 0000000037B0: 7EB60280
	v_mov_b32_e32 v156, 0                                      // 0000000037B4: 7F380280
	v_mov_b32_e32 v92, 0                                       // 0000000037B8: 7EB80280
	v_mov_b32_e32 v157, 0                                      // 0000000037BC: 7F3A0280
	v_mov_b32_e32 v93, 0                                       // 0000000037C0: 7EBA0280
	v_mov_b32_e32 v158, 0                                      // 0000000037C4: 7F3C0280
	v_mov_b32_e32 v94, 0                                       // 0000000037C8: 7EBC0280
	v_mov_b32_e32 v159, 0                                      // 0000000037CC: 7F3E0280
	v_mov_b32_e32 v95, 0                                       // 0000000037D0: 7EBE0280
	v_lshrrev_b32_e32 v50, 4, v0                               // 0000000037D4: 20640084
	v_mul_i32_i24_e32 v4, 34, v50                              // 0000000037D8: 0C0864A2
	v_and_b32_e32 v50, 15, v0                                  // 0000000037DC: 2664008F
	v_mul_i32_i24_e32 v51, 2, v50                              // 0000000037E0: 0C666482
	v_add_u32_e32 v4, v51, v4                                  // 0000000037E4: 68080933
	s_mul_i32 s60, s7, 0x88                                    // 0000000037E8: 923CFF07 00000088
	v_add_u32_e32 v4, s60, v4                                  // 0000000037F0: 6808083C
	v_lshlrev_b32_e32 v4, 2, v4                                // 0000000037F4: 24080882
	v_lshrrev_b32_e32 v50, 1, v0                               // 0000000037F8: 20640081
	v_mul_i32_i24_e32 v5, 34, v50                              // 0000000037FC: 0C0A64A2
	v_and_b32_e32 v51, 1, v0                                   // 000000003800: 26660081
	v_add_u32_e32 v5, v51, v5                                  // 000000003804: 680A0B33
	s_mul_i32 s60, s7, 2                                       // 000000003808: 923C8207
	v_add_u32_e32 v5, s60, v5                                  // 00000000380C: 680A0A3C
	v_lshlrev_b32_e32 v5, 2, v5                                // 000000003810: 240A0A82
	s_waitcnt vmcnt(8)                                         // 000000003814: BF8C0F78
	s_barrier                                                  // 000000003818: BF8A0000
	ds_read_b128 v[192:195], v2                                // 00000000381C: D9FE0000 C0000002
	ds_read_b128 v[196:199], v2 offset:64                      // 000000003824: D9FE0040 C4000002
	ds_read_b128 v[200:203], v2 offset:128                     // 00000000382C: D9FE0080 C8000002
	ds_read_b128 v[204:207], v2 offset:192                     // 000000003834: D9FE00C0 CC000002
	ds_read_b128 v[208:211], v2 offset:1024                    // 00000000383C: D9FE0400 D0000002
	ds_read_b128 v[212:215], v2 offset:1088                    // 000000003844: D9FE0440 D4000002
	ds_read_b128 v[216:219], v2 offset:1152                    // 00000000384C: D9FE0480 D8000002
	ds_read_b128 v[220:223], v2 offset:1216                    // 000000003854: D9FE04C0 DC000002
	ds_read_b32 v15, v3 offset:8320                            // 00000000385C: D86C2080 0F000003
	ds_read_b32 v16, v3 offset:8576                            // 000000003864: D86C2180 10000003
	ds_read_b32 v17, v3 offset:8832                            // 00000000386C: D86C2280 11000003
	ds_read_b32 v18, v3 offset:9088                            // 000000003874: D86C2380 12000003
	s_cmp_lt_i32 s7, 2                                         // 00000000387C: BF048207
	s_cbranch_scc0 label_0B2A                                  // 000000003880: BF840889

0000000000003884 <label_02A1>:
	s_waitcnt vmcnt(0) lgkmcnt(0)                              // 000000003884: BF8C0070
	s_barrier                                                  // 000000003888: BF8A0000
	v_mfma_f32_16x16x32_fp8_fp8 v[144:147], a[0:1], v[192:193], 0// 00000000388C: D3F30090 0A038100
	v_mfma_f32_16x16x32_fp8_fp8 v[144:147], a[2:3], v[194:195], v[144:147]// 000000003894: D3F30090 0E438502
	buffer_load_dwordx4 a[32:35], v40, s[92:95], 0 offen       // 00000000389C: E05C1000 80972028
	buffer_load_dword v32, s[20:23], 0 offen lds               // 0000000038A4: E0511000 80050020
	s_add_u32 m0, 0x100, s51                                   // 0000000038AC: 807C33FF 00000100
	buffer_load_dword v33, s[20:23], 0 offen lds               // 0000000038B4: E0511000 80050021
	s_add_u32 m0, 0x200, s51                                   // 0000000038BC: 807C33FF 00000200
	v_mfma_f32_16x16x32_fp8_fp8 v[144:147], a[4:5], v[196:197], v[144:147]// 0000000038C4: D3F30090 0E438904
	v_mfma_f32_16x16x32_fp8_fp8 v[144:147], a[6:7], v[198:199], v[144:147]// 0000000038CC: D3F30090 0E438D06
	buffer_load_dword v34, s[20:23], 0 offen lds               // 0000000038D4: E0511000 80050022
	s_add_u32 m0, 0x300, s51                                   // 0000000038DC: 807C33FF 00000300
	buffer_load_dword v35, s[20:23], 0 offen lds               // 0000000038E4: E0511000 80050023
	s_add_u32 m0, 0x400, s51                                   // 0000000038EC: 807C33FF 00000400
	v_mfma_f32_16x16x32_fp8_fp8 v[148:151], a[0:1], v[208:209], 0// 0000000038F4: D3F30094 0A03A100
	v_mfma_f32_16x16x32_fp8_fp8 v[148:151], a[2:3], v[210:211], v[148:151]// 0000000038FC: D3F30094 0E53A502
	buffer_load_dwordx4 a[36:39], v40, s[92:95], 0 offen offset:1024// 000000003904: E05C1400 80972428
	buffer_load_dword v36, s[20:23], 0 offen lds               // 00000000390C: E0511000 80050024
	s_add_u32 m0, 0x500, s51                                   // 000000003914: 807C33FF 00000500
	buffer_load_dword v37, s[20:23], 0 offen lds               // 00000000391C: E0511000 80050025
	s_add_u32 m0, 0x600, s51                                   // 000000003924: 807C33FF 00000600
	v_mfma_f32_16x16x32_fp8_fp8 v[148:151], a[4:5], v[212:213], v[148:151]// 00000000392C: D3F30094 0E53A904
	v_mfma_f32_16x16x32_fp8_fp8 v[148:151], a[6:7], v[214:215], v[148:151]// 000000003934: D3F30094 0E53AD06
	buffer_load_dword v38, s[20:23], 0 offen lds               // 00000000393C: E0511000 80050026
	s_add_u32 m0, 0x700, s51                                   // 000000003944: 807C33FF 00000700
	buffer_load_dword v39, s[20:23], 0 offen lds               // 00000000394C: E0511000 80050027
	s_add_u32 m0, s51, s76                                     // 000000003954: 807C4C33
	v_mfma_f32_16x16x32_fp8_fp8 v[152:155], a[16:17], v[192:193], 0// 000000003958: D3F30098 0A038110
	v_mfma_f32_16x16x32_fp8_fp8 v[152:155], a[18:19], v[194:195], v[152:155]// 000000003960: D3F30098 0E638512
	buffer_load_dwordx4 a[48:51], v41, s[92:95], 0 offen       // 000000003968: E05C1000 80973029
	v_mfma_f32_16x16x32_fp8_fp8 v[152:155], a[20:21], v[196:197], v[152:155]// 000000003970: D3F30098 0E638914
	v_mfma_f32_16x16x32_fp8_fp8 v[152:155], a[22:23], v[198:199], v[152:155]// 000000003978: D3F30098 0E638D16
	v_mfma_f32_16x16x32_fp8_fp8 v[156:159], a[16:17], v[208:209], 0// 000000003980: D3F3009C 0A03A110
	v_mfma_f32_16x16x32_fp8_fp8 v[156:159], a[18:19], v[210:211], v[156:159]// 000000003988: D3F3009C 0E73A512
	buffer_load_dwordx4 a[52:55], v41, s[92:95], 0 offen offset:1024// 000000003990: E05C1400 80973429
	v_mfma_f32_16x16x32_fp8_fp8 v[156:159], a[20:21], v[212:213], v[156:159]// 000000003998: D3F3009C 0E73A914
	v_mfma_f32_16x16x32_fp8_fp8 v[156:159], a[22:23], v[214:215], v[156:159]// 0000000039A0: D3F3009C 0E73AD16
	buffer_load_dword v7, s[28:31], 0 offen lds                // 0000000039A8: E0511000 80070007
	s_add_u32 m0, 0, s50                                       // 0000000039B0: 807C3280
	buffer_load_dword v24, v13, s[32:35], 0 offen              // 0000000039B4: E0501000 8008180D
	v_mul_f32_dpp v50, v23, v15 row_newbcast:0 row_mask:0xf bank_mask:0xf// 0000000039BC: 0A641EFA FF015017
	v_mov_b32_e32 v51, v50                                     // 0000000039C4: 7E660332
	v_pk_fma_f32 v[128:129], v[144:145], v[50:51], v[128:129]  // 0000000039C8: D3B04080 1E026590
	v_pk_fma_f32 v[130:131], v[146:147], v[50:51], v[130:131]  // 0000000039D0: D3B04082 1E0A6592
	v_pk_fma_f32 v[136:137], v[152:153], v[50:51], v[136:137]  // 0000000039D8: D3B04088 1E226598
	v_pk_fma_f32 v[138:139], v[154:155], v[50:51], v[138:139]  // 0000000039E0: D3B0408A 1E2A659A
	v_mul_f32_dpp v50, v23, v16 row_newbcast:0 row_mask:0xf bank_mask:0xf// 0000000039E8: 0A6420FA FF015017
	v_mov_b32_e32 v51, v50                                     // 0000000039F0: 7E660332
	v_pk_fma_f32 v[132:133], v[148:149], v[50:51], v[132:133]  // 0000000039F4: D3B04084 1E126594
	v_pk_fma_f32 v[134:135], v[150:151], v[50:51], v[134:135]  // 0000000039FC: D3B04086 1E1A6596
	v_pk_fma_f32 v[140:141], v[156:157], v[50:51], v[140:141]  // 000000003A04: D3B0408C 1E32659C
	v_pk_fma_f32 v[142:143], v[158:159], v[50:51], v[142:143]  // 000000003A0C: D3B0408E 1E3A659E
	v_mfma_f32_16x16x32_fp8_fp8 v[144:147], a[8:9], v[200:201], 0// 000000003A14: D3F30090 0A039108
	v_mfma_f32_16x16x32_fp8_fp8 v[144:147], a[10:11], v[202:203], v[144:147]// 000000003A1C: D3F30090 0E43950A
	buffer_load_dwordx4 a[40:43], v40, s[92:95], 0 offen offset:2048// 000000003A24: E05C1800 80972828
	v_mfma_f32_16x16x32_fp8_fp8 v[144:147], a[12:13], v[204:205], v[144:147]// 000000003A2C: D3F30090 0E43990C
	v_mfma_f32_16x16x32_fp8_fp8 v[144:147], a[14:15], v[206:207], v[144:147]// 000000003A34: D3F30090 0E439D0E
	v_mfma_f32_16x16x32_fp8_fp8 v[148:151], a[8:9], v[216:217], 0// 000000003A3C: D3F30094 0A03B108
	v_mfma_f32_16x16x32_fp8_fp8 v[148:151], a[10:11], v[218:219], v[148:151]// 000000003A44: D3F30094 0E53B50A
	buffer_load_dwordx4 a[44:47], v40, s[92:95], 0 offen offset:3072// 000000003A4C: E05C1C00 80972C28
	v_mfma_f32_16x16x32_fp8_fp8 v[148:151], a[12:13], v[220:221], v[148:151]// 000000003A54: D3F30094 0E53B90C
	v_mfma_f32_16x16x32_fp8_fp8 v[148:151], a[14:15], v[222:223], v[148:151]// 000000003A5C: D3F30094 0E53BD0E
	v_mfma_f32_16x16x32_fp8_fp8 v[152:155], a[24:25], v[200:201], 0// 000000003A64: D3F30098 0A039118
	v_mfma_f32_16x16x32_fp8_fp8 v[152:155], a[26:27], v[202:203], v[152:155]// 000000003A6C: D3F30098 0E63951A
	buffer_load_dwordx4 a[56:59], v41, s[92:95], 0 offen offset:2048// 000000003A74: E05C1800 80973829
	v_mfma_f32_16x16x32_fp8_fp8 v[152:155], a[28:29], v[204:205], v[152:155]// 000000003A7C: D3F30098 0E63991C
	v_mfma_f32_16x16x32_fp8_fp8 v[152:155], a[30:31], v[206:207], v[152:155]// 000000003A84: D3F30098 0E639D1E
	v_mfma_f32_16x16x32_fp8_fp8 v[156:159], a[24:25], v[216:217], 0// 000000003A8C: D3F3009C 0A03B118
	v_mfma_f32_16x16x32_fp8_fp8 v[156:159], a[26:27], v[218:219], v[156:159]// 000000003A94: D3F3009C 0E73B51A
	buffer_load_dwordx4 a[60:63], v41, s[92:95], 0 offen offset:3072// 000000003A9C: E05C1C00 80973C29
	v_mfma_f32_16x16x32_fp8_fp8 v[156:159], a[28:29], v[220:221], v[156:159]// 000000003AA4: D3F3009C 0E73B91C
	v_mfma_f32_16x16x32_fp8_fp8 v[156:159], a[30:31], v[222:223], v[156:159]// 000000003AAC: D3F3009C 0E73BD1E
	v_mul_f32_dpp v50, v23, v17 row_newbcast:2 row_mask:0xf bank_mask:0xf// 000000003AB4: 0A6422FA FF015217
	v_mov_b32_e32 v51, v50                                     // 000000003ABC: 7E660332
	v_pk_fma_f32 v[128:129], v[144:145], v[50:51], v[128:129]  // 000000003AC0: D3B04080 1E026590
	v_pk_fma_f32 v[130:131], v[146:147], v[50:51], v[130:131]  // 000000003AC8: D3B04082 1E0A6592
	v_pk_fma_f32 v[136:137], v[152:153], v[50:51], v[136:137]  // 000000003AD0: D3B04088 1E226598
	v_pk_fma_f32 v[138:139], v[154:155], v[50:51], v[138:139]  // 000000003AD8: D3B0408A 1E2A659A
	v_mul_f32_dpp v50, v23, v18 row_newbcast:2 row_mask:0xf bank_mask:0xf// 000000003AE0: 0A6424FA FF015217
	v_mov_b32_e32 v51, v50                                     // 000000003AE8: 7E660332
	v_pk_fma_f32 v[132:133], v[148:149], v[50:51], v[132:133]  // 000000003AEC: D3B04084 1E126594
	v_pk_fma_f32 v[134:135], v[150:151], v[50:51], v[134:135]  // 000000003AF4: D3B04086 1E1A6596
	v_pk_fma_f32 v[140:141], v[156:157], v[50:51], v[140:141]  // 000000003AFC: D3B0408C 1E32659C
	v_pk_fma_f32 v[142:143], v[158:159], v[50:51], v[142:143]  // 000000003B04: D3B0408E 1E3A659E
	s_add_u32 s60, 0x100, s80                                  // 000000003B0C: 803C50FF 00000100
	s_cmp_lt_u32 s60, s81                                      // 000000003B14: BF0A513C
	s_cselect_b32 s4, s4, 0                                    // 000000003B18: 85048004
	s_add_u32 s32, s4, s32                                     // 000000003B1C: 80202004
	s_addc_u32 s33, 0, s33                                     // 000000003B20: 82212180
	s_waitcnt vmcnt(0)                                         // 000000003B24: BF8C0F70
	s_barrier                                                  // 000000003B28: BF8A0000
	v_mfma_f32_16x16x32_fp8_fp8 v[80:83], a[32:33], v[192:193], 0// 000000003B2C: D3F30050 0A038120
	v_mfma_f32_16x16x32_fp8_fp8 v[80:83], a[34:35], v[194:195], v[80:83]// 000000003B34: D3F30050 0D438522
	buffer_load_dwordx4 a[0:3], v40, s[24:27], 0 offen         // 000000003B3C: E05C1000 80860028
	v_mfma_f32_16x16x32_fp8_fp8 v[80:83], a[36:37], v[196:197], v[80:83]// 000000003B44: D3F30050 0D438924
	v_mfma_f32_16x16x32_fp8_fp8 v[80:83], a[38:39], v[198:199], v[80:83]// 000000003B4C: D3F30050 0D438D26
	buffer_load_dword v23, v11, s[32:35], 0 offen              // 000000003B54: E0501000 8008170B
	ds_read_b128 v[224:227], v2 offset:9344                    // 000000003B5C: D9FE2480 E0000002
	ds_read_b32 v19, v3 offset:17664                           // 000000003B64: D86C4500 13000003
	v_mfma_f32_16x16x32_fp8_fp8 v[84:87], a[32:33], v[208:209], 0// 000000003B6C: D3F30054 0A03A120
	v_mfma_f32_16x16x32_fp8_fp8 v[84:87], a[34:35], v[210:211], v[84:87]// 000000003B74: D3F30054 0D53A522
	buffer_load_dwordx4 a[4:7], v40, s[24:27], 0 offen offset:1024// 000000003B7C: E05C1400 80860428
	v_mfma_f32_16x16x32_fp8_fp8 v[84:87], a[36:37], v[212:213], v[84:87]// 000000003B84: D3F30054 0D53A924
	v_mfma_f32_16x16x32_fp8_fp8 v[84:87], a[38:39], v[214:215], v[84:87]// 000000003B8C: D3F30054 0D53AD26
	ds_read_b128 v[228:231], v2 offset:9408                    // 000000003B94: D9FE24C0 E4000002
	ds_read_b32 v20, v3 offset:17920                           // 000000003B9C: D86C4600 14000003
	v_mfma_f32_16x16x32_fp8_fp8 v[88:91], a[48:49], v[192:193], 0// 000000003BA4: D3F30058 0A038130
	v_mfma_f32_16x16x32_fp8_fp8 v[88:91], a[50:51], v[194:195], v[88:91]// 000000003BAC: D3F30058 0D638532
	buffer_load_dwordx4 a[16:19], v41, s[24:27], 0 offen       // 000000003BB4: E05C1000 80861029
	v_mfma_f32_16x16x32_fp8_fp8 v[88:91], a[52:53], v[196:197], v[88:91]// 000000003BBC: D3F30058 0D638934
	v_mfma_f32_16x16x32_fp8_fp8 v[88:91], a[54:55], v[198:199], v[88:91]// 000000003BC4: D3F30058 0D638D36
	ds_read_b128 v[232:235], v2 offset:9472                    // 000000003BCC: D9FE2500 E8000002
	ds_read_b32 v21, v3 offset:18176                           // 000000003BD4: D86C4700 15000003
	v_mfma_f32_16x16x32_fp8_fp8 v[92:95], a[48:49], v[208:209], 0// 000000003BDC: D3F3005C 0A03A130
	v_mfma_f32_16x16x32_fp8_fp8 v[92:95], a[50:51], v[210:211], v[92:95]// 000000003BE4: D3F3005C 0D73A532
	buffer_load_dwordx4 a[20:23], v41, s[24:27], 0 offen offset:1024// 000000003BEC: E05C1400 80861429
	v_mfma_f32_16x16x32_fp8_fp8 v[92:95], a[52:53], v[212:213], v[92:95]// 000000003BF4: D3F3005C 0D73A934
	v_mfma_f32_16x16x32_fp8_fp8 v[92:95], a[54:55], v[214:215], v[92:95]// 000000003BFC: D3F3005C 0D73AD36
	ds_read_b128 v[236:239], v2 offset:9536                    // 000000003C04: D9FE2540 EC000002
	ds_read_b32 v22, v3 offset:18432                           // 000000003C0C: D86C4800 16000003
	v_mul_f32_dpp v50, v24, v15 row_newbcast:0 row_mask:0xf bank_mask:0xf// 000000003C14: 0A641EFA FF015018
	v_mov_b32_e32 v51, v50                                     // 000000003C1C: 7E660332
	v_pk_fma_f32 v[64:65], v[80:81], v[50:51], v[64:65]        // 000000003C20: D3B04040 1D026550
	v_pk_fma_f32 v[66:67], v[82:83], v[50:51], v[66:67]        // 000000003C28: D3B04042 1D0A6552
	v_pk_fma_f32 v[72:73], v[88:89], v[50:51], v[72:73]        // 000000003C30: D3B04048 1D226558
	v_pk_fma_f32 v[74:75], v[90:91], v[50:51], v[74:75]        // 000000003C38: D3B0404A 1D2A655A
	v_mul_f32_dpp v50, v24, v16 row_newbcast:0 row_mask:0xf bank_mask:0xf// 000000003C40: 0A6420FA FF015018
	v_mov_b32_e32 v51, v50                                     // 000000003C48: 7E660332
	v_pk_fma_f32 v[68:69], v[84:85], v[50:51], v[68:69]        // 000000003C4C: D3B04044 1D126554
	v_pk_fma_f32 v[70:71], v[86:87], v[50:51], v[70:71]        // 000000003C54: D3B04046 1D1A6556
	v_pk_fma_f32 v[76:77], v[92:93], v[50:51], v[76:77]        // 000000003C5C: D3B0404C 1D32655C
	v_pk_fma_f32 v[78:79], v[94:95], v[50:51], v[78:79]        // 000000003C64: D3B0404E 1D3A655E
	v_mfma_f32_16x16x32_fp8_fp8 v[80:83], a[40:41], v[200:201], 0// 000000003C6C: D3F30050 0A039128
	v_mfma_f32_16x16x32_fp8_fp8 v[80:83], a[42:43], v[202:203], v[80:83]// 000000003C74: D3F30050 0D43952A
	buffer_load_dwordx4 a[8:11], v40, s[24:27], 0 offen offset:2048// 000000003C7C: E05C1800 80860828
	v_mfma_f32_16x16x32_fp8_fp8 v[80:83], a[44:45], v[204:205], v[80:83]// 000000003C84: D3F30050 0D43992C
	v_mfma_f32_16x16x32_fp8_fp8 v[80:83], a[46:47], v[206:207], v[80:83]// 000000003C8C: D3F30050 0D439D2E
	ds_read_b128 v[240:243], v2 offset:10368                   // 000000003C94: D9FE2880 F0000002
	v_mfma_f32_16x16x32_fp8_fp8 v[84:87], a[40:41], v[216:217], 0// 000000003C9C: D3F30054 0A03B128
	v_mfma_f32_16x16x32_fp8_fp8 v[84:87], a[42:43], v[218:219], v[84:87]// 000000003CA4: D3F30054 0D53B52A
	buffer_load_dwordx4 a[12:15], v40, s[24:27], 0 offen offset:3072// 000000003CAC: E05C1C00 80860C28
	v_mfma_f32_16x16x32_fp8_fp8 v[84:87], a[44:45], v[220:221], v[84:87]// 000000003CB4: D3F30054 0D53B92C
	v_mfma_f32_16x16x32_fp8_fp8 v[84:87], a[46:47], v[222:223], v[84:87]// 000000003CBC: D3F30054 0D53BD2E
	ds_read_b128 v[244:247], v2 offset:10432                   // 000000003CC4: D9FE28C0 F4000002
	v_mfma_f32_16x16x32_fp8_fp8 v[88:91], a[56:57], v[200:201], 0// 000000003CCC: D3F30058 0A039138
	v_mfma_f32_16x16x32_fp8_fp8 v[88:91], a[58:59], v[202:203], v[88:91]// 000000003CD4: D3F30058 0D63953A
	buffer_load_dwordx4 a[24:27], v41, s[24:27], 0 offen offset:2048// 000000003CDC: E05C1800 80861829
	v_mfma_f32_16x16x32_fp8_fp8 v[88:91], a[60:61], v[204:205], v[88:91]// 000000003CE4: D3F30058 0D63993C
	v_mfma_f32_16x16x32_fp8_fp8 v[88:91], a[62:63], v[206:207], v[88:91]// 000000003CEC: D3F30058 0D639D3E
	ds_read_b128 v[248:251], v2 offset:10496                   // 000000003CF4: D9FE2900 F8000002
	v_mfma_f32_16x16x32_fp8_fp8 v[92:95], a[56:57], v[216:217], 0// 000000003CFC: D3F3005C 0A03B138
	v_mfma_f32_16x16x32_fp8_fp8 v[92:95], a[58:59], v[218:219], v[92:95]// 000000003D04: D3F3005C 0D73B53A
	buffer_load_dwordx4 a[28:31], v41, s[24:27], 0 offen offset:3072// 000000003D0C: E05C1C00 80861C29
	v_mfma_f32_16x16x32_fp8_fp8 v[92:95], a[60:61], v[220:221], v[92:95]// 000000003D14: D3F3005C 0D73B93C
	v_mfma_f32_16x16x32_fp8_fp8 v[92:95], a[62:63], v[222:223], v[92:95]// 000000003D1C: D3F3005C 0D73BD3E
	ds_read_b128 v[252:255], v2 offset:10560                   // 000000003D24: D9FE2940 FC000002
	v_mul_f32_dpp v50, v24, v17 row_newbcast:2 row_mask:0xf bank_mask:0xf// 000000003D2C: 0A6422FA FF015218
	v_mov_b32_e32 v51, v50                                     // 000000003D34: 7E660332
	v_pk_fma_f32 v[64:65], v[80:81], v[50:51], v[64:65]        // 000000003D38: D3B04040 1D026550
	v_pk_fma_f32 v[66:67], v[82:83], v[50:51], v[66:67]        // 000000003D40: D3B04042 1D0A6552
	v_pk_fma_f32 v[72:73], v[88:89], v[50:51], v[72:73]        // 000000003D48: D3B04048 1D226558
	v_pk_fma_f32 v[74:75], v[90:91], v[50:51], v[74:75]        // 000000003D50: D3B0404A 1D2A655A
	v_mul_f32_dpp v50, v24, v18 row_newbcast:2 row_mask:0xf bank_mask:0xf// 000000003D58: 0A6424FA FF015218
	v_mov_b32_e32 v51, v50                                     // 000000003D60: 7E660332
	v_pk_fma_f32 v[68:69], v[84:85], v[50:51], v[68:69]        // 000000003D64: D3B04044 1D126554
	v_pk_fma_f32 v[70:71], v[86:87], v[50:51], v[70:71]        // 000000003D6C: D3B04046 1D1A6556
	v_pk_fma_f32 v[76:77], v[92:93], v[50:51], v[76:77]        // 000000003D74: D3B0404C 1D32655C
	v_pk_fma_f32 v[78:79], v[94:95], v[50:51], v[78:79]        // 000000003D7C: D3B0404E 1D3A655E
	s_add_u32 s60, 0x200, s80                                  // 000000003D84: 803C50FF 00000200
	s_cmp_lt_u32 s60, s81                                      // 000000003D8C: BF0A513C
	s_cselect_b32 s57, s57, 0                                  // 000000003D90: 85398039
	s_cselect_b32 s3, s3, 0                                    // 000000003D94: 85038003
	s_add_u32 s60, 0x200, s80                                  // 000000003D98: 803C50FF 00000200
	s_cmp_lt_u32 s60, s81                                      // 000000003DA0: BF0A513C
	s_cselect_b32 s58, s58, 0                                  // 000000003DA4: 853A803A
	s_add_u32 s20, s57, s20                                    // 000000003DA8: 80141439
	s_addc_u32 s21, 0, s21                                     // 000000003DAC: 82151580
	s_add_u32 s28, s3, s28                                     // 000000003DB0: 801C1C03
	s_addc_u32 s29, 0, s29                                     // 000000003DB4: 821D1D80
	s_add_u32 s24, s58, s24                                    // 000000003DB8: 8018183A
	s_addc_u32 s25, 0, s25                                     // 000000003DBC: 82191980
	s_add_u32 s92, s90, s92                                    // 000000003DC0: 805C5C5A
	s_addc_u32 s93, 0, s93                                     // 000000003DC4: 825D5D80
	s_addk_i32 s80, 0x100                                      // 000000003DC8: B7500100
	s_cmp_lt_i32 s80, s81                                      // 000000003DCC: BF045150
	s_cbranch_scc0 label_054A                                  // 000000003DD0: BF840155
	s_waitcnt vmcnt(0) lgkmcnt(0)                              // 000000003DD4: BF8C0070
	s_barrier                                                  // 000000003DD8: BF8A0000
	v_mfma_f32_16x16x32_fp8_fp8 v[144:147], a[0:1], v[224:225], 0// 000000003DDC: D3F30090 0A03C100
	v_mfma_f32_16x16x32_fp8_fp8 v[144:147], a[2:3], v[226:227], v[144:147]// 000000003DE4: D3F30090 0E43C502
	buffer_load_dwordx4 a[32:35], v40, s[92:95], 0 offen       // 000000003DEC: E05C1000 80972028
	buffer_load_dword v32, s[20:23], 0 offen lds               // 000000003DF4: E0511000 80050020
	s_add_u32 m0, 0x100, s50                                   // 000000003DFC: 807C32FF 00000100
	buffer_load_dword v33, s[20:23], 0 offen lds               // 000000003E04: E0511000 80050021
	s_add_u32 m0, 0x200, s50                                   // 000000003E0C: 807C32FF 00000200
	v_mfma_f32_16x16x32_fp8_fp8 v[144:147], a[4:5], v[228:229], v[144:147]// 000000003E14: D3F30090 0E43C904
	v_mfma_f32_16x16x32_fp8_fp8 v[144:147], a[6:7], v[230:231], v[144:147]// 000000003E1C: D3F30090 0E43CD06
	buffer_load_dword v34, s[20:23], 0 offen lds               // 000000003E24: E0511000 80050022
	s_add_u32 m0, 0x300, s50                                   // 000000003E2C: 807C32FF 00000300
	buffer_load_dword v35, s[20:23], 0 offen lds               // 000000003E34: E0511000 80050023
	s_add_u32 m0, 0x400, s50                                   // 000000003E3C: 807C32FF 00000400
	v_mfma_f32_16x16x32_fp8_fp8 v[148:151], a[0:1], v[240:241], 0// 000000003E44: D3F30094 0A03E100
	v_mfma_f32_16x16x32_fp8_fp8 v[148:151], a[2:3], v[242:243], v[148:151]// 000000003E4C: D3F30094 0E53E502
	buffer_load_dwordx4 a[36:39], v40, s[92:95], 0 offen offset:1024// 000000003E54: E05C1400 80972428
	buffer_load_dword v36, s[20:23], 0 offen lds               // 000000003E5C: E0511000 80050024
	s_add_u32 m0, 0x500, s50                                   // 000000003E64: 807C32FF 00000500
	buffer_load_dword v37, s[20:23], 0 offen lds               // 000000003E6C: E0511000 80050025
	s_add_u32 m0, 0x600, s50                                   // 000000003E74: 807C32FF 00000600
	v_mfma_f32_16x16x32_fp8_fp8 v[148:151], a[4:5], v[244:245], v[148:151]// 000000003E7C: D3F30094 0E53E904
	v_mfma_f32_16x16x32_fp8_fp8 v[148:151], a[6:7], v[246:247], v[148:151]// 000000003E84: D3F30094 0E53ED06
	buffer_load_dword v38, s[20:23], 0 offen lds               // 000000003E8C: E0511000 80050026
	s_add_u32 m0, 0x700, s50                                   // 000000003E94: 807C32FF 00000700
	buffer_load_dword v39, s[20:23], 0 offen lds               // 000000003E9C: E0511000 80050027
	s_add_u32 m0, s50, s76                                     // 000000003EA4: 807C4C32
	v_mfma_f32_16x16x32_fp8_fp8 v[152:155], a[16:17], v[224:225], 0// 000000003EA8: D3F30098 0A03C110
	v_mfma_f32_16x16x32_fp8_fp8 v[152:155], a[18:19], v[226:227], v[152:155]// 000000003EB0: D3F30098 0E63C512
	buffer_load_dwordx4 a[48:51], v41, s[92:95], 0 offen       // 000000003EB8: E05C1000 80973029
	v_mfma_f32_16x16x32_fp8_fp8 v[152:155], a[20:21], v[228:229], v[152:155]// 000000003EC0: D3F30098 0E63C914
	v_mfma_f32_16x16x32_fp8_fp8 v[152:155], a[22:23], v[230:231], v[152:155]// 000000003EC8: D3F30098 0E63CD16
	v_mfma_f32_16x16x32_fp8_fp8 v[156:159], a[16:17], v[240:241], 0// 000000003ED0: D3F3009C 0A03E110
	v_mfma_f32_16x16x32_fp8_fp8 v[156:159], a[18:19], v[242:243], v[156:159]// 000000003ED8: D3F3009C 0E73E512
	buffer_load_dwordx4 a[52:55], v41, s[92:95], 0 offen offset:1024// 000000003EE0: E05C1400 80973429
	v_mfma_f32_16x16x32_fp8_fp8 v[156:159], a[20:21], v[244:245], v[156:159]// 000000003EE8: D3F3009C 0E73E914
	v_mfma_f32_16x16x32_fp8_fp8 v[156:159], a[22:23], v[246:247], v[156:159]// 000000003EF0: D3F3009C 0E73ED16
	buffer_load_dword v7, s[28:31], 0 offen lds                // 000000003EF8: E0511000 80070007
	s_add_u32 m0, 0, s51                                       // 000000003F00: 807C3380
	buffer_load_dword v24, v13, s[32:35], 0 offen              // 000000003F04: E0501000 8008180D
	v_mul_f32_dpp v50, v23, v19 row_newbcast:0 row_mask:0xf bank_mask:0xf// 000000003F0C: 0A6426FA FF015017
	v_mov_b32_e32 v51, v50                                     // 000000003F14: 7E660332
	v_pk_fma_f32 v[128:129], v[144:145], v[50:51], v[128:129]  // 000000003F18: D3B04080 1E026590
	v_pk_fma_f32 v[130:131], v[146:147], v[50:51], v[130:131]  // 000000003F20: D3B04082 1E0A6592
	v_pk_fma_f32 v[136:137], v[152:153], v[50:51], v[136:137]  // 000000003F28: D3B04088 1E226598
	v_pk_fma_f32 v[138:139], v[154:155], v[50:51], v[138:139]  // 000000003F30: D3B0408A 1E2A659A
	v_mul_f32_dpp v50, v23, v20 row_newbcast:0 row_mask:0xf bank_mask:0xf// 000000003F38: 0A6428FA FF015017
	v_mov_b32_e32 v51, v50                                     // 000000003F40: 7E660332
	v_pk_fma_f32 v[132:133], v[148:149], v[50:51], v[132:133]  // 000000003F44: D3B04084 1E126594
	v_pk_fma_f32 v[134:135], v[150:151], v[50:51], v[134:135]  // 000000003F4C: D3B04086 1E1A6596
	v_pk_fma_f32 v[140:141], v[156:157], v[50:51], v[140:141]  // 000000003F54: D3B0408C 1E32659C
	v_pk_fma_f32 v[142:143], v[158:159], v[50:51], v[142:143]  // 000000003F5C: D3B0408E 1E3A659E
	v_mfma_f32_16x16x32_fp8_fp8 v[144:147], a[8:9], v[232:233], 0// 000000003F64: D3F30090 0A03D108
	v_mfma_f32_16x16x32_fp8_fp8 v[144:147], a[10:11], v[234:235], v[144:147]// 000000003F6C: D3F30090 0E43D50A
	buffer_load_dwordx4 a[40:43], v40, s[92:95], 0 offen offset:2048// 000000003F74: E05C1800 80972828
	v_mfma_f32_16x16x32_fp8_fp8 v[144:147], a[12:13], v[236:237], v[144:147]// 000000003F7C: D3F30090 0E43D90C
	v_mfma_f32_16x16x32_fp8_fp8 v[144:147], a[14:15], v[238:239], v[144:147]// 000000003F84: D3F30090 0E43DD0E
	v_mfma_f32_16x16x32_fp8_fp8 v[148:151], a[8:9], v[248:249], 0// 000000003F8C: D3F30094 0A03F108
	v_mfma_f32_16x16x32_fp8_fp8 v[148:151], a[10:11], v[250:251], v[148:151]// 000000003F94: D3F30094 0E53F50A
	buffer_load_dwordx4 a[44:47], v40, s[92:95], 0 offen offset:3072// 000000003F9C: E05C1C00 80972C28
	v_mfma_f32_16x16x32_fp8_fp8 v[148:151], a[12:13], v[252:253], v[148:151]// 000000003FA4: D3F30094 0E53F90C
	v_mfma_f32_16x16x32_fp8_fp8 v[148:151], a[14:15], v[254:255], v[148:151]// 000000003FAC: D3F30094 0E53FD0E
	v_mfma_f32_16x16x32_fp8_fp8 v[152:155], a[24:25], v[232:233], 0// 000000003FB4: D3F30098 0A03D118
	v_mfma_f32_16x16x32_fp8_fp8 v[152:155], a[26:27], v[234:235], v[152:155]// 000000003FBC: D3F30098 0E63D51A
	buffer_load_dwordx4 a[56:59], v41, s[92:95], 0 offen offset:2048// 000000003FC4: E05C1800 80973829
	v_mfma_f32_16x16x32_fp8_fp8 v[152:155], a[28:29], v[236:237], v[152:155]// 000000003FCC: D3F30098 0E63D91C
	v_mfma_f32_16x16x32_fp8_fp8 v[152:155], a[30:31], v[238:239], v[152:155]// 000000003FD4: D3F30098 0E63DD1E
	v_mfma_f32_16x16x32_fp8_fp8 v[156:159], a[24:25], v[248:249], 0// 000000003FDC: D3F3009C 0A03F118
	v_mfma_f32_16x16x32_fp8_fp8 v[156:159], a[26:27], v[250:251], v[156:159]// 000000003FE4: D3F3009C 0E73F51A
	buffer_load_dwordx4 a[60:63], v41, s[92:95], 0 offen offset:3072// 000000003FEC: E05C1C00 80973C29
	v_mfma_f32_16x16x32_fp8_fp8 v[156:159], a[28:29], v[252:253], v[156:159]// 000000003FF4: D3F3009C 0E73F91C
	v_mfma_f32_16x16x32_fp8_fp8 v[156:159], a[30:31], v[254:255], v[156:159]// 000000003FFC: D3F3009C 0E73FD1E
	v_mul_f32_dpp v50, v23, v21 row_newbcast:2 row_mask:0xf bank_mask:0xf// 000000004004: 0A642AFA FF015217
	v_mov_b32_e32 v51, v50                                     // 00000000400C: 7E660332
	v_pk_fma_f32 v[128:129], v[144:145], v[50:51], v[128:129]  // 000000004010: D3B04080 1E026590
	v_pk_fma_f32 v[130:131], v[146:147], v[50:51], v[130:131]  // 000000004018: D3B04082 1E0A6592
	v_pk_fma_f32 v[136:137], v[152:153], v[50:51], v[136:137]  // 000000004020: D3B04088 1E226598
	v_pk_fma_f32 v[138:139], v[154:155], v[50:51], v[138:139]  // 000000004028: D3B0408A 1E2A659A
	v_mul_f32_dpp v50, v23, v22 row_newbcast:2 row_mask:0xf bank_mask:0xf// 000000004030: 0A642CFA FF015217
	v_mov_b32_e32 v51, v50                                     // 000000004038: 7E660332
	v_pk_fma_f32 v[132:133], v[148:149], v[50:51], v[132:133]  // 00000000403C: D3B04084 1E126594
	v_pk_fma_f32 v[134:135], v[150:151], v[50:51], v[134:135]  // 000000004044: D3B04086 1E1A6596
	v_pk_fma_f32 v[140:141], v[156:157], v[50:51], v[140:141]  // 00000000404C: D3B0408C 1E32659C
	v_pk_fma_f32 v[142:143], v[158:159], v[50:51], v[142:143]  // 000000004054: D3B0408E 1E3A659E
	s_add_u32 s60, 0x100, s80                                  // 00000000405C: 803C50FF 00000100
	s_cmp_lt_u32 s60, s81                                      // 000000004064: BF0A513C
	s_cselect_b32 s4, s4, 0                                    // 000000004068: 85048004
	s_add_u32 s32, s4, s32                                     // 00000000406C: 80202004
	s_addc_u32 s33, 0, s33                                     // 000000004070: 82212180
	s_waitcnt vmcnt(0)                                         // 000000004074: BF8C0F70
	s_barrier                                                  // 000000004078: BF8A0000
	v_mfma_f32_16x16x32_fp8_fp8 v[80:83], a[32:33], v[224:225], 0// 00000000407C: D3F30050 0A03C120
	v_mfma_f32_16x16x32_fp8_fp8 v[80:83], a[34:35], v[226:227], v[80:83]// 000000004084: D3F30050 0D43C522
	buffer_load_dwordx4 a[0:3], v40, s[24:27], 0 offen         // 00000000408C: E05C1000 80860028
	v_mfma_f32_16x16x32_fp8_fp8 v[80:83], a[36:37], v[228:229], v[80:83]// 000000004094: D3F30050 0D43C924
	v_mfma_f32_16x16x32_fp8_fp8 v[80:83], a[38:39], v[230:231], v[80:83]// 00000000409C: D3F30050 0D43CD26
	buffer_load_dword v23, v11, s[32:35], 0 offen              // 0000000040A4: E0501000 8008170B
	ds_read_b128 v[192:195], v2                                // 0000000040AC: D9FE0000 C0000002
	ds_read_b32 v15, v3 offset:8320                            // 0000000040B4: D86C2080 0F000003
	v_mfma_f32_16x16x32_fp8_fp8 v[84:87], a[32:33], v[240:241], 0// 0000000040BC: D3F30054 0A03E120
	v_mfma_f32_16x16x32_fp8_fp8 v[84:87], a[34:35], v[242:243], v[84:87]// 0000000040C4: D3F30054 0D53E522
	buffer_load_dwordx4 a[4:7], v40, s[24:27], 0 offen offset:1024// 0000000040CC: E05C1400 80860428
	v_mfma_f32_16x16x32_fp8_fp8 v[84:87], a[36:37], v[244:245], v[84:87]// 0000000040D4: D3F30054 0D53E924
	v_mfma_f32_16x16x32_fp8_fp8 v[84:87], a[38:39], v[246:247], v[84:87]// 0000000040DC: D3F30054 0D53ED26
	ds_read_b128 v[196:199], v2 offset:64                      // 0000000040E4: D9FE0040 C4000002
	ds_read_b32 v16, v3 offset:8576                            // 0000000040EC: D86C2180 10000003
	v_mfma_f32_16x16x32_fp8_fp8 v[88:91], a[48:49], v[224:225], 0// 0000000040F4: D3F30058 0A03C130
	v_mfma_f32_16x16x32_fp8_fp8 v[88:91], a[50:51], v[226:227], v[88:91]// 0000000040FC: D3F30058 0D63C532
	buffer_load_dwordx4 a[16:19], v41, s[24:27], 0 offen       // 000000004104: E05C1000 80861029
	v_mfma_f32_16x16x32_fp8_fp8 v[88:91], a[52:53], v[228:229], v[88:91]// 00000000410C: D3F30058 0D63C934
	v_mfma_f32_16x16x32_fp8_fp8 v[88:91], a[54:55], v[230:231], v[88:91]// 000000004114: D3F30058 0D63CD36
	ds_read_b128 v[200:203], v2 offset:128                     // 00000000411C: D9FE0080 C8000002
	ds_read_b32 v17, v3 offset:8832                            // 000000004124: D86C2280 11000003
	v_mfma_f32_16x16x32_fp8_fp8 v[92:95], a[48:49], v[240:241], 0// 00000000412C: D3F3005C 0A03E130
	v_mfma_f32_16x16x32_fp8_fp8 v[92:95], a[50:51], v[242:243], v[92:95]// 000000004134: D3F3005C 0D73E532
	buffer_load_dwordx4 a[20:23], v41, s[24:27], 0 offen offset:1024// 00000000413C: E05C1400 80861429
	v_mfma_f32_16x16x32_fp8_fp8 v[92:95], a[52:53], v[244:245], v[92:95]// 000000004144: D3F3005C 0D73E934
	v_mfma_f32_16x16x32_fp8_fp8 v[92:95], a[54:55], v[246:247], v[92:95]// 00000000414C: D3F3005C 0D73ED36
	ds_read_b128 v[204:207], v2 offset:192                     // 000000004154: D9FE00C0 CC000002
	ds_read_b32 v18, v3 offset:9088                            // 00000000415C: D86C2380 12000003
	v_mul_f32_dpp v50, v24, v19 row_newbcast:0 row_mask:0xf bank_mask:0xf// 000000004164: 0A6426FA FF015018
	v_mov_b32_e32 v51, v50                                     // 00000000416C: 7E660332
	v_pk_fma_f32 v[64:65], v[80:81], v[50:51], v[64:65]        // 000000004170: D3B04040 1D026550
	v_pk_fma_f32 v[66:67], v[82:83], v[50:51], v[66:67]        // 000000004178: D3B04042 1D0A6552
	v_pk_fma_f32 v[72:73], v[88:89], v[50:51], v[72:73]        // 000000004180: D3B04048 1D226558
	v_pk_fma_f32 v[74:75], v[90:91], v[50:51], v[74:75]        // 000000004188: D3B0404A 1D2A655A
	v_mul_f32_dpp v50, v24, v20 row_newbcast:0 row_mask:0xf bank_mask:0xf// 000000004190: 0A6428FA FF015018
	v_mov_b32_e32 v51, v50                                     // 000000004198: 7E660332
	v_pk_fma_f32 v[68:69], v[84:85], v[50:51], v[68:69]        // 00000000419C: D3B04044 1D126554
	v_pk_fma_f32 v[70:71], v[86:87], v[50:51], v[70:71]        // 0000000041A4: D3B04046 1D1A6556
	v_pk_fma_f32 v[76:77], v[92:93], v[50:51], v[76:77]        // 0000000041AC: D3B0404C 1D32655C
	v_pk_fma_f32 v[78:79], v[94:95], v[50:51], v[78:79]        // 0000000041B4: D3B0404E 1D3A655E
	v_mfma_f32_16x16x32_fp8_fp8 v[80:83], a[40:41], v[232:233], 0// 0000000041BC: D3F30050 0A03D128
	v_mfma_f32_16x16x32_fp8_fp8 v[80:83], a[42:43], v[234:235], v[80:83]// 0000000041C4: D3F30050 0D43D52A
	buffer_load_dwordx4 a[8:11], v40, s[24:27], 0 offen offset:2048// 0000000041CC: E05C1800 80860828
	v_mfma_f32_16x16x32_fp8_fp8 v[80:83], a[44:45], v[236:237], v[80:83]// 0000000041D4: D3F30050 0D43D92C
	v_mfma_f32_16x16x32_fp8_fp8 v[80:83], a[46:47], v[238:239], v[80:83]// 0000000041DC: D3F30050 0D43DD2E
	ds_read_b128 v[208:211], v2 offset:1024                    // 0000000041E4: D9FE0400 D0000002
	v_mfma_f32_16x16x32_fp8_fp8 v[84:87], a[40:41], v[248:249], 0// 0000000041EC: D3F30054 0A03F128
	v_mfma_f32_16x16x32_fp8_fp8 v[84:87], a[42:43], v[250:251], v[84:87]// 0000000041F4: D3F30054 0D53F52A
	buffer_load_dwordx4 a[12:15], v40, s[24:27], 0 offen offset:3072// 0000000041FC: E05C1C00 80860C28
	v_mfma_f32_16x16x32_fp8_fp8 v[84:87], a[44:45], v[252:253], v[84:87]// 000000004204: D3F30054 0D53F92C
	v_mfma_f32_16x16x32_fp8_fp8 v[84:87], a[46:47], v[254:255], v[84:87]// 00000000420C: D3F30054 0D53FD2E
	ds_read_b128 v[212:215], v2 offset:1088                    // 000000004214: D9FE0440 D4000002
	v_mfma_f32_16x16x32_fp8_fp8 v[88:91], a[56:57], v[232:233], 0// 00000000421C: D3F30058 0A03D138
	v_mfma_f32_16x16x32_fp8_fp8 v[88:91], a[58:59], v[234:235], v[88:91]// 000000004224: D3F30058 0D63D53A
	buffer_load_dwordx4 a[24:27], v41, s[24:27], 0 offen offset:2048// 00000000422C: E05C1800 80861829
	v_mfma_f32_16x16x32_fp8_fp8 v[88:91], a[60:61], v[236:237], v[88:91]// 000000004234: D3F30058 0D63D93C
	v_mfma_f32_16x16x32_fp8_fp8 v[88:91], a[62:63], v[238:239], v[88:91]// 00000000423C: D3F30058 0D63DD3E
	ds_read_b128 v[216:219], v2 offset:1152                    // 000000004244: D9FE0480 D8000002
	v_mfma_f32_16x16x32_fp8_fp8 v[92:95], a[56:57], v[248:249], 0// 00000000424C: D3F3005C 0A03F138
	v_mfma_f32_16x16x32_fp8_fp8 v[92:95], a[58:59], v[250:251], v[92:95]// 000000004254: D3F3005C 0D73F53A
	buffer_load_dwordx4 a[28:31], v41, s[24:27], 0 offen offset:3072// 00000000425C: E05C1C00 80861C29
	v_mfma_f32_16x16x32_fp8_fp8 v[92:95], a[60:61], v[252:253], v[92:95]// 000000004264: D3F3005C 0D73F93C
	v_mfma_f32_16x16x32_fp8_fp8 v[92:95], a[62:63], v[254:255], v[92:95]// 00000000426C: D3F3005C 0D73FD3E
	ds_read_b128 v[220:223], v2 offset:1216                    // 000000004274: D9FE04C0 DC000002
	v_mul_f32_dpp v50, v24, v21 row_newbcast:2 row_mask:0xf bank_mask:0xf// 00000000427C: 0A642AFA FF015218
	v_mov_b32_e32 v51, v50                                     // 000000004284: 7E660332
	v_pk_fma_f32 v[64:65], v[80:81], v[50:51], v[64:65]        // 000000004288: D3B04040 1D026550
	v_pk_fma_f32 v[66:67], v[82:83], v[50:51], v[66:67]        // 000000004290: D3B04042 1D0A6552
	v_pk_fma_f32 v[72:73], v[88:89], v[50:51], v[72:73]        // 000000004298: D3B04048 1D226558
	v_pk_fma_f32 v[74:75], v[90:91], v[50:51], v[74:75]        // 0000000042A0: D3B0404A 1D2A655A
	v_mul_f32_dpp v50, v24, v22 row_newbcast:2 row_mask:0xf bank_mask:0xf// 0000000042A8: 0A642CFA FF015218
	v_mov_b32_e32 v51, v50                                     // 0000000042B0: 7E660332
	v_pk_fma_f32 v[68:69], v[84:85], v[50:51], v[68:69]        // 0000000042B4: D3B04044 1D126554
	v_pk_fma_f32 v[70:71], v[86:87], v[50:51], v[70:71]        // 0000000042BC: D3B04046 1D1A6556
	v_pk_fma_f32 v[76:77], v[92:93], v[50:51], v[76:77]        // 0000000042C4: D3B0404C 1D32655C
	v_pk_fma_f32 v[78:79], v[94:95], v[50:51], v[78:79]        // 0000000042CC: D3B0404E 1D3A655E
	s_add_u32 s60, 0x200, s80                                  // 0000000042D4: 803C50FF 00000200
	s_cmp_lt_u32 s60, s81                                      // 0000000042DC: BF0A513C
	s_cselect_b32 s57, s57, 0                                  // 0000000042E0: 85398039
	s_cselect_b32 s3, s3, 0                                    // 0000000042E4: 85038003
	s_add_u32 s60, 0x200, s80                                  // 0000000042E8: 803C50FF 00000200
	s_cmp_lt_u32 s60, s81                                      // 0000000042F0: BF0A513C
	s_cselect_b32 s58, s58, 0                                  // 0000000042F4: 853A803A
	s_add_u32 s20, s57, s20                                    // 0000000042F8: 80141439
	s_addc_u32 s21, 0, s21                                     // 0000000042FC: 82151580
	s_add_u32 s28, s3, s28                                     // 000000004300: 801C1C03
	s_addc_u32 s29, 0, s29                                     // 000000004304: 821D1D80
	s_add_u32 s24, s58, s24                                    // 000000004308: 8018183A
	s_addc_u32 s25, 0, s25                                     // 00000000430C: 82191980
	s_add_u32 s92, s90, s92                                    // 000000004310: 805C5C5A
	s_addc_u32 s93, 0, s93                                     // 000000004314: 825D5D80
	s_addk_i32 s80, 0x100                                      // 000000004318: B7500100
	s_cmp_lt_i32 s80, s81                                      // 00000000431C: BF045150
	s_cbranch_scc0 label_054A                                  // 000000004320: BF840001
	s_branch label_02A1                                        // 000000004324: BF82FD57

0000000000004328 <label_054A>:
	s_mov_b32 s20, 0                                           // 000000004328: BE940080
	s_cmp_lt_u32 s89, s66                                      // 00000000432C: BF0A4259
	s_cselect_b32 s60, 0, 1                                    // 000000004330: 853C8180
	s_lshl1_add_u32 s20, s20, s60                              // 000000004334: 97143C14
	s_cmp_lt_u32 s88, s66                                      // 000000004338: BF0A4258
	s_cselect_b32 s60, 0, 1                                    // 00000000433C: 853C8180
	s_lshl1_add_u32 s20, s20, s60                              // 000000004340: 97143C14
	s_cmp_lt_u32 s87, s66                                      // 000000004344: BF0A4257
	s_cselect_b32 s60, 0, 1                                    // 000000004348: 853C8180
	s_lshl1_add_u32 s20, s20, s60                              // 00000000434C: 97143C14
	s_cmp_lt_u32 s86, s66                                      // 000000004350: BF0A4256
	s_cselect_b32 s60, 0, 1                                    // 000000004354: 853C8180
	s_lshl1_add_u32 s20, s20, s60                              // 000000004358: 97143C14
	s_cmp_lt_u32 s85, s66                                      // 00000000435C: BF0A4255
	s_cselect_b32 s60, 0, 1                                    // 000000004360: 853C8180
	s_lshl1_add_u32 s20, s20, s60                              // 000000004364: 97143C14
	s_cmp_lt_u32 s84, s66                                      // 000000004368: BF0A4254
	s_cselect_b32 s60, 0, 1                                    // 00000000436C: 853C8180
	s_lshl1_add_u32 s20, s20, s60                              // 000000004370: 97143C14
	s_cmp_lt_u32 s83, s66                                      // 000000004374: BF0A4253
	s_cselect_b32 s60, 0, 1                                    // 000000004378: 853C8180
	s_lshl1_add_u32 s20, s20, s60                              // 00000000437C: 97143C14
	s_cmp_lt_u32 s82, s66                                      // 000000004380: BF0A4252
	s_cselect_b32 s60, 0, 1                                    // 000000004384: 853C8180
	s_lshl1_add_u32 s20, s20, s60                              // 000000004388: 97143C14
	s_waitcnt vmcnt(4)                                         // 00000000438C: BF8C0F74
	buffer_load_dwordx4 a[0:3], v42, s[12:15], 0 offen         // 000000004390: E05C1000 8083002A
	v_mul_f32_e32 v50, v128, v128                              // 000000004398: 0A650180
	v_mul_f32_e32 v51, v129, v129                              // 00000000439C: 0A670381
	v_mul_f32_e32 v52, v130, v130                              // 0000000043A0: 0A690582
	v_mul_f32_e32 v53, v131, v131                              // 0000000043A4: 0A6B0783
	v_fma_f32 v50, v50, s77, v1                                // 0000000043A8: D1CB0032 04049B32
	v_fma_f32 v51, v51, s77, v1                                // 0000000043B0: D1CB0033 04049B33
	v_fma_f32 v52, v52, s77, v1                                // 0000000043B8: D1CB0034 04049B34
	v_fma_f32 v53, v53, s77, v1                                // 0000000043C0: D1CB0035 04049B35
	v_mul_f32_e32 v50, v50, v128                               // 0000000043C8: 0A650132
	v_mul_f32_e32 v51, v51, v129                               // 0000000043CC: 0A670333
	v_mul_f32_e32 v52, v52, v130                               // 0000000043D0: 0A690534
	v_mul_f32_e32 v53, v53, v131                               // 0000000043D4: 0A6B0735
	v_mul_f32_e64 v50, v50, s6                                 // 0000000043D8: D1050032 00000D32
	v_mul_f32_e64 v51, v51, s6                                 // 0000000043E0: D1050033 00000D33
	v_mul_f32_e64 v52, v52, s6                                 // 0000000043E8: D1050034 00000D34
	v_mul_f32_e64 v53, v53, s6                                 // 0000000043F0: D1050035 00000D35
	v_exp_f32_e32 v50, v50                                     // 0000000043F8: 7E644132
	v_exp_f32_e32 v51, v51                                     // 0000000043FC: 7E664133
	v_exp_f32_e32 v52, v52                                     // 000000004400: 7E684134
	v_exp_f32_e32 v53, v53                                     // 000000004404: 7E6A4135
	buffer_load_dwordx4 a[4:7], v43, s[12:15], 0 offen         // 000000004408: E05C1000 8083042B
	v_add_f32_e64 v50, v50, 1.0                                // 000000004410: D1010032 0001E532
	v_add_f32_e64 v51, v51, 1.0                                // 000000004418: D1010033 0001E533
	v_add_f32_e64 v52, v52, 1.0                                // 000000004420: D1010034 0001E534
	v_add_f32_e64 v53, v53, 1.0                                // 000000004428: D1010035 0001E535
	v_rcp_f32_e32 v50, v50                                     // 000000004430: 7E644532
	v_rcp_f32_e32 v51, v51                                     // 000000004434: 7E664533
	v_rcp_f32_e32 v52, v52                                     // 000000004438: 7E684534
	v_rcp_f32_e32 v53, v53                                     // 00000000443C: 7E6A4535
	v_mul_f32_e32 v128, v128, v50                              // 000000004440: 0B006580
	v_mul_f32_e32 v129, v129, v51                              // 000000004444: 0B026781
	v_mul_f32_e32 v130, v130, v52                              // 000000004448: 0B046982
	v_mul_f32_e32 v131, v131, v53                              // 00000000444C: 0B066B83
	v_mul_f32_e32 v128, v128, v64                              // 000000004450: 0B008180
	v_mul_f32_e32 v129, v129, v65                              // 000000004454: 0B028381
	v_mul_f32_e32 v130, v130, v66                              // 000000004458: 0B048582
	v_mul_f32_e32 v131, v131, v67                              // 00000000445C: 0B068783
	buffer_load_dwordx4 a[8:11], v44, s[12:15], 0 offen        // 000000004460: E05C1000 8083082C
	v_mul_f32_e32 v50, v132, v132                              // 000000004468: 0A650984
	v_mul_f32_e32 v51, v133, v133                              // 00000000446C: 0A670B85
	v_mul_f32_e32 v52, v134, v134                              // 000000004470: 0A690D86
	v_mul_f32_e32 v53, v135, v135                              // 000000004474: 0A6B0F87
	v_fma_f32 v50, v50, s77, v1                                // 000000004478: D1CB0032 04049B32
	v_fma_f32 v51, v51, s77, v1                                // 000000004480: D1CB0033 04049B33
	v_fma_f32 v52, v52, s77, v1                                // 000000004488: D1CB0034 04049B34
	v_fma_f32 v53, v53, s77, v1                                // 000000004490: D1CB0035 04049B35
	v_mul_f32_e32 v50, v50, v132                               // 000000004498: 0A650932
	v_mul_f32_e32 v51, v51, v133                               // 00000000449C: 0A670B33
	v_mul_f32_e32 v52, v52, v134                               // 0000000044A0: 0A690D34
	v_mul_f32_e32 v53, v53, v135                               // 0000000044A4: 0A6B0F35
	v_mul_f32_e64 v50, v50, s6                                 // 0000000044A8: D1050032 00000D32
	v_mul_f32_e64 v51, v51, s6                                 // 0000000044B0: D1050033 00000D33
	v_mul_f32_e64 v52, v52, s6                                 // 0000000044B8: D1050034 00000D34
	v_mul_f32_e64 v53, v53, s6                                 // 0000000044C0: D1050035 00000D35
	v_exp_f32_e32 v50, v50                                     // 0000000044C8: 7E644132
	v_exp_f32_e32 v51, v51                                     // 0000000044CC: 7E664133
	v_exp_f32_e32 v52, v52                                     // 0000000044D0: 7E684134
	v_exp_f32_e32 v53, v53                                     // 0000000044D4: 7E6A4135
	buffer_load_dwordx4 a[12:15], v45, s[12:15], 0 offen       // 0000000044D8: E05C1000 80830C2D
	s_add_u32 s12, s78, s12                                    // 0000000044E0: 800C0C4E
	s_addc_u32 s13, 0, s13                                     // 0000000044E4: 820D0D80
	v_add_f32_e64 v50, v50, 1.0                                // 0000000044E8: D1010032 0001E532
	v_add_f32_e64 v51, v51, 1.0                                // 0000000044F0: D1010033 0001E533
	v_add_f32_e64 v52, v52, 1.0                                // 0000000044F8: D1010034 0001E534
	v_add_f32_e64 v53, v53, 1.0                                // 000000004500: D1010035 0001E535
	v_rcp_f32_e32 v50, v50                                     // 000000004508: 7E644532
	v_rcp_f32_e32 v51, v51                                     // 00000000450C: 7E664533
	v_rcp_f32_e32 v52, v52                                     // 000000004510: 7E684534
	v_rcp_f32_e32 v53, v53                                     // 000000004514: 7E6A4535
	v_mul_f32_e32 v132, v132, v50                              // 000000004518: 0B086584
	v_mul_f32_e32 v133, v133, v51                              // 00000000451C: 0B0A6785
	v_mul_f32_e32 v134, v134, v52                              // 000000004520: 0B0C6986
	v_mul_f32_e32 v135, v135, v53                              // 000000004524: 0B0E6B87
	v_mul_f32_e32 v132, v132, v68                              // 000000004528: 0B088984
	v_mul_f32_e32 v133, v133, v69                              // 00000000452C: 0B0A8B85
	v_mul_f32_e32 v134, v134, v70                              // 000000004530: 0B0C8D86
	v_mul_f32_e32 v135, v135, v71                              // 000000004534: 0B0E8F87
	s_waitcnt vmcnt(4)                                         // 000000004538: BF8C0F74
	buffer_load_dwordx4 a[16:19], v42, s[12:15], 0 offen       // 00000000453C: E05C1000 8083102A
	v_mul_f32_e32 v50, v136, v136                              // 000000004544: 0A651188
	v_mul_f32_e32 v51, v137, v137                              // 000000004548: 0A671389
	v_mul_f32_e32 v52, v138, v138                              // 00000000454C: 0A69158A
	v_mul_f32_e32 v53, v139, v139                              // 000000004550: 0A6B178B
	v_fma_f32 v50, v50, s77, v1                                // 000000004554: D1CB0032 04049B32
	v_fma_f32 v51, v51, s77, v1                                // 00000000455C: D1CB0033 04049B33
	v_fma_f32 v52, v52, s77, v1                                // 000000004564: D1CB0034 04049B34
	v_fma_f32 v53, v53, s77, v1                                // 00000000456C: D1CB0035 04049B35
	v_mul_f32_e32 v50, v50, v136                               // 000000004574: 0A651132
	v_mul_f32_e32 v51, v51, v137                               // 000000004578: 0A671333
	v_mul_f32_e32 v52, v52, v138                               // 00000000457C: 0A691534
	v_mul_f32_e32 v53, v53, v139                               // 000000004580: 0A6B1735
	v_mul_f32_e64 v50, v50, s6                                 // 000000004584: D1050032 00000D32
	v_mul_f32_e64 v51, v51, s6                                 // 00000000458C: D1050033 00000D33
	v_mul_f32_e64 v52, v52, s6                                 // 000000004594: D1050034 00000D34
	v_mul_f32_e64 v53, v53, s6                                 // 00000000459C: D1050035 00000D35
	v_exp_f32_e32 v50, v50                                     // 0000000045A4: 7E644132
	v_exp_f32_e32 v51, v51                                     // 0000000045A8: 7E664133
	v_exp_f32_e32 v52, v52                                     // 0000000045AC: 7E684134
	v_exp_f32_e32 v53, v53                                     // 0000000045B0: 7E6A4135
	buffer_load_dwordx4 a[20:23], v43, s[12:15], 0 offen       // 0000000045B4: E05C1000 8083142B
	v_add_f32_e64 v50, v50, 1.0                                // 0000000045BC: D1010032 0001E532
	v_add_f32_e64 v51, v51, 1.0                                // 0000000045C4: D1010033 0001E533
	v_add_f32_e64 v52, v52, 1.0                                // 0000000045CC: D1010034 0001E534
	v_add_f32_e64 v53, v53, 1.0                                // 0000000045D4: D1010035 0001E535
	v_rcp_f32_e32 v50, v50                                     // 0000000045DC: 7E644532
	v_rcp_f32_e32 v51, v51                                     // 0000000045E0: 7E664533
	v_rcp_f32_e32 v52, v52                                     // 0000000045E4: 7E684534
	v_rcp_f32_e32 v53, v53                                     // 0000000045E8: 7E6A4535
	v_mul_f32_e32 v136, v136, v50                              // 0000000045EC: 0B106588
	v_mul_f32_e32 v137, v137, v51                              // 0000000045F0: 0B126789
	v_mul_f32_e32 v138, v138, v52                              // 0000000045F4: 0B14698A
	v_mul_f32_e32 v139, v139, v53                              // 0000000045F8: 0B166B8B
	v_mul_f32_e32 v136, v136, v72                              // 0000000045FC: 0B109188
	v_mul_f32_e32 v137, v137, v73                              // 000000004600: 0B129389
	v_mul_f32_e32 v138, v138, v74                              // 000000004604: 0B14958A
	v_mul_f32_e32 v139, v139, v75                              // 000000004608: 0B16978B
	buffer_load_dwordx4 a[24:27], v44, s[12:15], 0 offen       // 00000000460C: E05C1000 8083182C
	v_mul_f32_e32 v50, v140, v140                              // 000000004614: 0A65198C
	v_mul_f32_e32 v51, v141, v141                              // 000000004618: 0A671B8D
	v_mul_f32_e32 v52, v142, v142                              // 00000000461C: 0A691D8E
	v_mul_f32_e32 v53, v143, v143                              // 000000004620: 0A6B1F8F
	v_fma_f32 v50, v50, s77, v1                                // 000000004624: D1CB0032 04049B32
	v_fma_f32 v51, v51, s77, v1                                // 00000000462C: D1CB0033 04049B33
	v_fma_f32 v52, v52, s77, v1                                // 000000004634: D1CB0034 04049B34
	v_fma_f32 v53, v53, s77, v1                                // 00000000463C: D1CB0035 04049B35
	v_mul_f32_e32 v50, v50, v140                               // 000000004644: 0A651932
	v_mul_f32_e32 v51, v51, v141                               // 000000004648: 0A671B33
	v_mul_f32_e32 v52, v52, v142                               // 00000000464C: 0A691D34
	v_mul_f32_e32 v53, v53, v143                               // 000000004650: 0A6B1F35
	v_mul_f32_e64 v50, v50, s6                                 // 000000004654: D1050032 00000D32
	v_mul_f32_e64 v51, v51, s6                                 // 00000000465C: D1050033 00000D33
	v_mul_f32_e64 v52, v52, s6                                 // 000000004664: D1050034 00000D34
	v_mul_f32_e64 v53, v53, s6                                 // 00000000466C: D1050035 00000D35
	v_exp_f32_e32 v50, v50                                     // 000000004674: 7E644132
	v_exp_f32_e32 v51, v51                                     // 000000004678: 7E664133
	v_exp_f32_e32 v52, v52                                     // 00000000467C: 7E684134
	v_exp_f32_e32 v53, v53                                     // 000000004680: 7E6A4135
	buffer_load_dwordx4 a[28:31], v45, s[12:15], 0 offen       // 000000004684: E05C1000 80831C2D
	v_add_f32_e64 v50, v50, 1.0                                // 00000000468C: D1010032 0001E532
	v_add_f32_e64 v51, v51, 1.0                                // 000000004694: D1010033 0001E533
	v_add_f32_e64 v52, v52, 1.0                                // 00000000469C: D1010034 0001E534
	v_add_f32_e64 v53, v53, 1.0                                // 0000000046A4: D1010035 0001E535
	v_rcp_f32_e32 v50, v50                                     // 0000000046AC: 7E644532
	v_rcp_f32_e32 v51, v51                                     // 0000000046B0: 7E664533
	v_rcp_f32_e32 v52, v52                                     // 0000000046B4: 7E684534
	v_rcp_f32_e32 v53, v53                                     // 0000000046B8: 7E6A4535
	v_mul_f32_e32 v140, v140, v50                              // 0000000046BC: 0B18658C
	v_mul_f32_e32 v141, v141, v51                              // 0000000046C0: 0B1A678D
	v_mul_f32_e32 v142, v142, v52                              // 0000000046C4: 0B1C698E
	v_mul_f32_e32 v143, v143, v53                              // 0000000046C8: 0B1E6B8F
	v_mul_f32_e32 v140, v140, v76                              // 0000000046CC: 0B18998C
	v_mul_f32_e32 v141, v141, v77                              // 0000000046D0: 0B1A9B8D
	v_mul_f32_e32 v142, v142, v78                              // 0000000046D4: 0B1C9D8E
	v_mul_f32_e32 v143, v143, v79                              // 0000000046D8: 0B1E9F8F
	v_lshlrev_b32_e32 v50, 2, v0                               // 0000000046DC: 24640082
	s_mul_i32 s60, s82, s71                                    // 0000000046E0: 923C4752
	v_add_u32_e64 v80, v50, s60                                // 0000000046E4: D1340050 00007932
	v_mov_b32_e32 v81, 0                                       // 0000000046EC: 7EA20280
	s_mul_i32 s60, s83, s71                                    // 0000000046F0: 923C4753
	v_add_u32_e64 v82, v50, s60                                // 0000000046F4: D1340052 00007932
	v_mov_b32_e32 v83, 0                                       // 0000000046FC: 7EA60280
	s_mul_i32 s60, s84, s71                                    // 000000004700: 923C4754
	v_add_u32_e64 v84, v50, s60                                // 000000004704: D1340054 00007932
	v_mov_b32_e32 v85, 0                                       // 00000000470C: 7EAA0280
	s_mul_i32 s60, s85, s71                                    // 000000004710: 923C4755
	v_add_u32_e64 v86, v50, s60                                // 000000004714: D1340056 00007932
	v_mov_b32_e32 v87, 0                                       // 00000000471C: 7EAE0280
	s_mul_i32 s60, s86, s71                                    // 000000004720: 923C4756
	v_add_u32_e64 v88, v50, s60                                // 000000004724: D1340058 00007932
	v_mov_b32_e32 v89, 0                                       // 00000000472C: 7EB20280
	s_mul_i32 s60, s87, s71                                    // 000000004730: 923C4757
	v_add_u32_e64 v90, v50, s60                                // 000000004734: D134005A 00007932
	v_mov_b32_e32 v91, 0                                       // 00000000473C: 7EB60280
	s_mul_i32 s60, s88, s71                                    // 000000004740: 923C4758
	v_add_u32_e64 v92, v50, s60                                // 000000004744: D134005C 00007932
	v_mov_b32_e32 v93, 0                                       // 00000000474C: 7EBA0280
	s_mul_i32 s60, s89, s71                                    // 000000004750: 923C4759
	v_add_u32_e64 v94, v50, s60                                // 000000004754: D134005E 00007932
	v_mov_b32_e32 v95, 0                                       // 00000000475C: 7EBE0280
	buffer_load_dword v23, v6, s[16:19], 0 offen               // 000000004760: E0501000 80041706
	v_mov_b32_e32 v28, 0x358637bd                              // 000000004768: 7E3802FF 358637BD
	v_mov_b32_e32 v29, 0x358637bd                              // 000000004770: 7E3A02FF 358637BD
	v_max3_f32 v28, |v128|, |v129|, v28                        // 000000004778: D1D3031C 04730380
	v_max3_f32 v28, |v130|, |v131|, v28                        // 000000004780: D1D3031C 04730782
	v_max3_f32 v29, |v132|, |v133|, v29                        // 000000004788: D1D3031D 04770B84
	v_max3_f32 v29, |v134|, |v135|, v29                        // 000000004790: D1D3031D 04770F86
	v_max3_f32 v28, |v136|, |v137|, v28                        // 000000004798: D1D3031C 04731388
	v_max3_f32 v28, |v138|, |v139|, v28                        // 0000000047A0: D1D3031C 0473178A
	v_max3_f32 v29, |v140|, |v141|, v29                        // 0000000047A8: D1D3031D 04771B8C
	v_max3_f32 v29, |v142|, |v143|, v29                        // 0000000047B0: D1D3031D 04771F8E
	v_lshlrev_b32_e32 v50, 3, v0                               // 0000000047B8: 24640083
	s_mul_i32 s60, 0x200, s7                                   // 0000000047BC: 923C07FF 00000200
	v_add_u32_e32 v50, s60, v50                                // 0000000047C4: 6864643C
	ds_write_b64 v50, v[28:29] offset:18688                    // 0000000047C8: D89A4900 00001C32
	s_waitcnt lgkmcnt(0)                                       // 0000000047D0: BF8CC07F
	s_barrier                                                  // 0000000047D4: BF8A0000
	v_and_b32_e32 v50, 15, v0                                  // 0000000047D8: 2664008F
	v_lshlrev_b32_e32 v50, 3, v50                              // 0000000047DC: 24646483
	ds_read_b64 v[96:97], v50 offset:18688                     // 0000000047E0: D8EC4900 60000032
	ds_read_b64 v[98:99], v50 offset:18816                     // 0000000047E8: D8EC4980 62000032
	ds_read_b64 v[100:101], v50 offset:18944                   // 0000000047F0: D8EC4A00 64000032
	ds_read_b64 v[102:103], v50 offset:19072                   // 0000000047F8: D8EC4A80 66000032
	ds_read_b64 v[104:105], v50 offset:19200                   // 000000004800: D8EC4B00 68000032
	ds_read_b64 v[106:107], v50 offset:19328                   // 000000004808: D8EC4B80 6A000032
	ds_read_b64 v[108:109], v50 offset:19456                   // 000000004810: D8EC4C00 6C000032
	ds_read_b64 v[110:111], v50 offset:19584                   // 000000004818: D8EC4C80 6E000032
	ds_read_b64 v[112:113], v50 offset:19712                   // 000000004820: D8EC4D00 70000032
	ds_read_b64 v[114:115], v50 offset:19840                   // 000000004828: D8EC4D80 72000032
	ds_read_b64 v[116:117], v50 offset:19968                   // 000000004830: D8EC4E00 74000032
	ds_read_b64 v[118:119], v50 offset:20096                   // 000000004838: D8EC4E80 76000032
	ds_read_b64 v[120:121], v50 offset:20224                   // 000000004840: D8EC4F00 78000032
	ds_read_b64 v[122:123], v50 offset:20352                   // 000000004848: D8EC4F80 7A000032
	ds_read_b64 v[124:125], v50 offset:20480                   // 000000004850: D8EC5000 7C000032
	ds_read_b64 v[126:127], v50 offset:20608                   // 000000004858: D8EC5080 7E000032
	s_waitcnt lgkmcnt(0)                                       // 000000004860: BF8CC07F
	v_max3_f32 v28, |v96|, |v98|, v28                          // 000000004864: D1D3031C 0472C560
	v_max3_f32 v29, |v97|, |v99|, v29                          // 00000000486C: D1D3031D 0476C761
	v_max3_f32 v28, |v100|, |v102|, v28                        // 000000004874: D1D3031C 0472CD64
	v_max3_f32 v29, |v101|, |v103|, v29                        // 00000000487C: D1D3031D 0476CF65
	v_max3_f32 v28, |v104|, |v106|, v28                        // 000000004884: D1D3031C 0472D568
	v_max3_f32 v29, |v105|, |v107|, v29                        // 00000000488C: D1D3031D 0476D769
	v_max3_f32 v28, |v108|, |v110|, v28                        // 000000004894: D1D3031C 0472DD6C
	v_max3_f32 v29, |v109|, |v111|, v29                        // 00000000489C: D1D3031D 0476DF6D
	v_max3_f32 v28, |v112|, |v114|, v28                        // 0000000048A4: D1D3031C 0472E570
	v_max3_f32 v29, |v113|, |v115|, v29                        // 0000000048AC: D1D3031D 0476E771
	v_max3_f32 v28, |v116|, |v118|, v28                        // 0000000048B4: D1D3031C 0472ED74
	v_max3_f32 v29, |v117|, |v119|, v29                        // 0000000048BC: D1D3031D 0476EF75
	v_max3_f32 v28, |v120|, |v122|, v28                        // 0000000048C4: D1D3031C 0472F578
	v_max3_f32 v29, |v121|, |v123|, v29                        // 0000000048CC: D1D3031D 0476F779
	v_max3_f32 v28, |v124|, |v126|, v28                        // 0000000048D4: D1D3031C 0472FD7C
	v_max3_f32 v29, |v125|, |v127|, v29                        // 0000000048DC: D1D3031D 0476FF7D
	v_rcp_f32_e32 v28, v28                                     // 0000000048E4: 7E38451C
	v_rcp_f32_e32 v29, v29                                     // 0000000048E8: 7E3A451D
	v_mov_b32_e32 v50, 0x43700000                              // 0000000048EC: 7E6402FF 43700000
	v_mul_f32_e32 v28, v50, v28                                // 0000000048F4: 0A383932
	v_mul_f32_e32 v29, v50, v29                                // 0000000048F8: 0A3A3B32
	v_mul_f32_e32 v128, v28, v128                              // 0000000048FC: 0B01011C
	v_mul_f32_e32 v129, v28, v129                              // 000000004900: 0B03031C
	v_mul_f32_e32 v130, v28, v130                              // 000000004904: 0B05051C
	v_mul_f32_e32 v131, v28, v131                              // 000000004908: 0B07071C
	v_cvt_pk_fp8_f32 v128, v128, v129                          // 00000000490C: D2A20080 00030380
	v_cvt_pk_fp8_f32 v128, v130, v131 op_sel:[0,0,1]           // 000000004914: D2A24080 00030782
	v_mul_f32_e32 v132, v29, v132                              // 00000000491C: 0B09091D
	v_mul_f32_e32 v133, v29, v133                              // 000000004920: 0B0B0B1D
	v_mul_f32_e32 v134, v29, v134                              // 000000004924: 0B0D0D1D
	v_mul_f32_e32 v135, v29, v135                              // 000000004928: 0B0F0F1D
	v_cvt_pk_fp8_f32 v129, v132, v133                          // 00000000492C: D2A20081 00030B84
	v_cvt_pk_fp8_f32 v129, v134, v135 op_sel:[0,0,1]           // 000000004934: D2A24081 00030F86
	v_mul_f32_e32 v136, v28, v136                              // 00000000493C: 0B11111C
	v_mul_f32_e32 v137, v28, v137                              // 000000004940: 0B13131C
	v_mul_f32_e32 v138, v28, v138                              // 000000004944: 0B15151C
	v_mul_f32_e32 v139, v28, v139                              // 000000004948: 0B17171C
	v_cvt_pk_fp8_f32 v130, v136, v137                          // 00000000494C: D2A20082 00031388
	v_cvt_pk_fp8_f32 v130, v138, v139 op_sel:[0,0,1]           // 000000004954: D2A24082 0003178A
	v_mul_f32_e32 v140, v29, v140                              // 00000000495C: 0B19191D
	v_mul_f32_e32 v141, v29, v141                              // 000000004960: 0B1B1B1D
	v_mul_f32_e32 v142, v29, v142                              // 000000004964: 0B1D1D1D
	v_mul_f32_e32 v143, v29, v143                              // 000000004968: 0B1F1F1D
	v_cvt_pk_fp8_f32 v131, v140, v141                          // 00000000496C: D2A20083 00031B8C
	v_cvt_pk_fp8_f32 v131, v142, v143 op_sel:[0,0,1]           // 000000004974: D2A24083 00031F8E
	v_rcp_f32_e32 v30, v28                                     // 00000000497C: 7E3C451C
	v_rcp_f32_e32 v31, v29                                     // 000000004980: 7E3E451D
	v_lshrrev_b32_e32 v50, 5, v0                               // 000000004984: 20640085
	v_lshlrev_b32_e32 v51, 5, v50                              // 000000004988: 24666485
	v_and_b32_e32 v50, 31, v0                                  // 00000000498C: 2664009F
	v_lshrrev_b32_e32 v52, 4, v50                              // 000000004990: 20686484
	v_add_u32_e32 v51, v52, v51                                // 000000004994: 68666734
	v_and_b32_e32 v50, 15, v0                                  // 000000004998: 2664008F
	v_lshlrev_b32_e32 v50, 1, v50                              // 00000000499C: 24646481
	v_add_u32_e32 v51, v50, v51                                // 0000000049A0: 68666732
	v_lshlrev_b32_e32 v50, 2, v51                              // 0000000049A4: 24646682
	s_mul_i32 s60, 0x100, s7                                   // 0000000049A8: 923C07FF 00000100
	v_add_u32_e64 v50, v50, s60                                // 0000000049B0: D1340032 00007932
	ds_write_b32 v50, v128 offset:20736                        // 0000000049B8: D81A5100 00008032
	ds_write_b32 v50, v129 offset:22784                        // 0000000049C0: D81A5900 00008132
	ds_write_b32 v50, v130 offset:21760                        // 0000000049C8: D81A5500 00008232
	ds_write_b32 v50, v131 offset:23808                        // 0000000049D0: D81A5D00 00008332
	s_waitcnt lgkmcnt(0)                                       // 0000000049D8: BF8CC07F
	s_barrier                                                  // 0000000049DC: BF8A0000
	v_lshrrev_b32_e32 v50, 4, v0                               // 0000000049E0: 20640084
	v_lshlrev_b32_e32 v51, 6, v50                              // 0000000049E4: 24666486
	v_and_b32_e32 v50, 15, v0                                  // 0000000049E8: 2664008F
	v_lshlrev_b32_e32 v50, 1, v50                              // 0000000049EC: 24646481
	v_add_u32_e32 v51, v50, v51                                // 0000000049F0: 68666732
	v_lshlrev_b32_e32 v50, 2, v51                              // 0000000049F4: 24646682
	ds_read_b64 v[128:129], v50 offset:20736                   // 0000000049F8: D8EC5100 80000032
	ds_read_b64 v[130:131], v50 offset:20864                   // 000000004A00: D8EC5180 82000032
	ds_read_b64 v[132:133], v50 offset:21760                   // 000000004A08: D8EC5500 84000032
	ds_read_b64 v[134:135], v50 offset:21888                   // 000000004A10: D8EC5580 86000032
	ds_read_b64 v[136:137], v50 offset:22784                   // 000000004A18: D8EC5900 88000032
	ds_read_b64 v[138:139], v50 offset:22912                   // 000000004A20: D8EC5980 8A000032
	ds_read_b64 v[140:141], v50 offset:23808                   // 000000004A28: D8EC5D00 8C000032
	ds_read_b64 v[142:143], v50 offset:23936                   // 000000004A30: D8EC5D80 8E000032
	s_add_u32 s12, s56, s12                                    // 000000004A38: 800C0C38
	s_addc_u32 s13, 0, s13                                     // 000000004A3C: 820D0D80
	s_add_u32 s16, s79, s16                                    // 000000004A40: 8010104F
	s_addc_u32 s17, 0, s17                                     // 000000004A44: 82111180
	s_mov_b32 s80, 0                                           // 000000004A48: BED00080
	s_waitcnt vmcnt(0) expcnt(0) lgkmcnt(0)                    // 000000004A4C: BF8C0000

0000000000004a50 <label_0714>:
	s_waitcnt vmcnt(4)                                         // 000000004A50: BF8C0F74
	s_barrier                                                  // 000000004A54: BF8A0000
	v_mfma_f32_16x16x32_fp8_fp8 v[192:195], a[0:1], v[128:129], 0// 000000004A58: D3F300C0 0A030100
	v_mfma_f32_16x16x32_fp8_fp8 v[192:195], a[2:3], v[130:131], v[192:195]// 000000004A60: D3F300C0 0F030502
	buffer_load_dwordx4 a[32:35], v42, s[12:15], 0 offen       // 000000004A68: E05C1000 8083202A
	v_mfma_f32_16x16x32_fp8_fp8 v[196:199], a[0:1], v[136:137], 0// 000000004A70: D3F300C4 0A031100
	v_mfma_f32_16x16x32_fp8_fp8 v[196:199], a[2:3], v[138:139], v[196:199]// 000000004A78: D3F300C4 0F131502
	buffer_load_dword v24, v6, s[16:19], 0 offen               // 000000004A80: E0501000 80041806
	v_mfma_f32_16x16x32_fp8_fp8 v[200:203], a[4:5], v[128:129], 0// 000000004A88: D3F300C8 0A030104
	v_mfma_f32_16x16x32_fp8_fp8 v[200:203], a[6:7], v[130:131], v[200:203]// 000000004A90: D3F300C8 0F230506
	buffer_load_dwordx4 a[36:39], v43, s[12:15], 0 offen       // 000000004A98: E05C1000 8083242B
	v_mfma_f32_16x16x32_fp8_fp8 v[204:207], a[4:5], v[136:137], 0// 000000004AA0: D3F300CC 0A031104
	v_mfma_f32_16x16x32_fp8_fp8 v[204:207], a[6:7], v[138:139], v[204:207]// 000000004AA8: D3F300CC 0F331506
	v_mfma_f32_16x16x32_fp8_fp8 v[208:211], a[8:9], v[128:129], 0// 000000004AB0: D3F300D0 0A030108
	v_mfma_f32_16x16x32_fp8_fp8 v[208:211], a[10:11], v[130:131], v[208:211]// 000000004AB8: D3F300D0 0F43050A
	buffer_load_dwordx4 a[40:43], v44, s[12:15], 0 offen       // 000000004AC0: E05C1000 8083282C
	v_mfma_f32_16x16x32_fp8_fp8 v[212:215], a[8:9], v[136:137], 0// 000000004AC8: D3F300D4 0A031108
	v_mfma_f32_16x16x32_fp8_fp8 v[212:215], a[10:11], v[138:139], v[212:215]// 000000004AD0: D3F300D4 0F53150A
	v_mfma_f32_16x16x32_fp8_fp8 v[216:219], a[12:13], v[128:129], 0// 000000004AD8: D3F300D8 0A03010C
	v_mfma_f32_16x16x32_fp8_fp8 v[216:219], a[14:15], v[130:131], v[216:219]// 000000004AE0: D3F300D8 0F63050E
	buffer_load_dwordx4 a[44:47], v45, s[12:15], 0 offen       // 000000004AE8: E05C1000 80832C2D
	s_add_u32 s12, s78, s12                                    // 000000004AF0: 800C0C4E
	s_addc_u32 s13, 0, s13                                     // 000000004AF4: 820D0D80
	v_mfma_f32_16x16x32_fp8_fp8 v[220:223], a[12:13], v[136:137], 0// 000000004AF8: D3F300DC 0A03110C
	v_mfma_f32_16x16x32_fp8_fp8 v[220:223], a[14:15], v[138:139], v[220:223]// 000000004B00: D3F300DC 0F73150E
	s_waitcnt vmcnt(5)                                         // 000000004B08: BF8C0F75
	v_mfma_f32_16x16x32_fp8_fp8 v[192:195], a[16:17], v[132:133], v[192:195]// 000000004B0C: D3F300C0 0F030910
	v_mfma_f32_16x16x32_fp8_fp8 v[192:195], a[18:19], v[134:135], v[192:195]// 000000004B14: D3F300C0 0F030D12
	buffer_load_dwordx4 a[48:51], v42, s[12:15], 0 offen       // 000000004B1C: E05C1000 8083302A
	v_mfma_f32_16x16x32_fp8_fp8 v[196:199], a[16:17], v[140:141], v[196:199]// 000000004B24: D3F300C4 0F131910
	v_mfma_f32_16x16x32_fp8_fp8 v[196:199], a[18:19], v[142:143], v[196:199]// 000000004B2C: D3F300C4 0F131D12
	v_mfma_f32_16x16x32_fp8_fp8 v[200:203], a[20:21], v[132:133], v[200:203]// 000000004B34: D3F300C8 0F230914
	v_mfma_f32_16x16x32_fp8_fp8 v[200:203], a[22:23], v[134:135], v[200:203]// 000000004B3C: D3F300C8 0F230D16
	buffer_load_dwordx4 a[52:55], v43, s[12:15], 0 offen       // 000000004B44: E05C1000 8083342B
	v_mfma_f32_16x16x32_fp8_fp8 v[204:207], a[20:21], v[140:141], v[204:207]// 000000004B4C: D3F300CC 0F331914
	v_mfma_f32_16x16x32_fp8_fp8 v[204:207], a[22:23], v[142:143], v[204:207]// 000000004B54: D3F300CC 0F331D16
	v_mfma_f32_16x16x32_fp8_fp8 v[208:211], a[24:25], v[132:133], v[208:211]// 000000004B5C: D3F300D0 0F430918
	v_mfma_f32_16x16x32_fp8_fp8 v[208:211], a[26:27], v[134:135], v[208:211]// 000000004B64: D3F300D0 0F430D1A
	buffer_load_dwordx4 a[56:59], v44, s[12:15], 0 offen       // 000000004B6C: E05C1000 8083382C
	v_mfma_f32_16x16x32_fp8_fp8 v[212:215], a[24:25], v[140:141], v[212:215]// 000000004B74: D3F300D4 0F531918
	v_mfma_f32_16x16x32_fp8_fp8 v[212:215], a[26:27], v[142:143], v[212:215]// 000000004B7C: D3F300D4 0F531D1A
	v_mfma_f32_16x16x32_fp8_fp8 v[216:219], a[28:29], v[132:133], v[216:219]// 000000004B84: D3F300D8 0F63091C
	v_mfma_f32_16x16x32_fp8_fp8 v[216:219], a[30:31], v[134:135], v[216:219]// 000000004B8C: D3F300D8 0F630D1E
	buffer_load_dwordx4 a[60:63], v45, s[12:15], 0 offen       // 000000004B94: E05C1000 80833C2D
	v_mfma_f32_16x16x32_fp8_fp8 v[220:223], a[28:29], v[140:141], v[220:223]// 000000004B9C: D3F300DC 0F73191C
	v_mfma_f32_16x16x32_fp8_fp8 v[220:223], a[30:31], v[142:143], v[220:223]// 000000004BA4: D3F300DC 0F731D1E
	v_mul_f32_dpp v50, v23, v30 row_newbcast:0 row_mask:0xf bank_mask:0xf// 000000004BAC: 0A643CFA FF015017
	v_mov_b32_e32 v51, v50                                     // 000000004BB4: 7E660332
	v_pk_mul_f32 v[192:193], v[50:51], v[192:193]              // 000000004BB8: D3B140C0 18038132
	v_pk_mul_f32 v[194:195], v[50:51], v[194:195]              // 000000004BC0: D3B140C2 18038532
	v_pk_mul_f32 v[200:201], v[50:51], v[200:201]              // 000000004BC8: D3B140C8 18039132
	v_pk_mul_f32 v[202:203], v[50:51], v[202:203]              // 000000004BD0: D3B140CA 18039532
	v_mul_f32_dpp v50, v23, v30 row_newbcast:1 row_mask:0xf bank_mask:0xf// 000000004BD8: 0A643CFA FF015117
	v_mov_b32_e32 v51, v50                                     // 000000004BE0: 7E660332
	v_pk_mul_f32 v[208:209], v[50:51], v[208:209]              // 000000004BE4: D3B140D0 1803A132
	v_pk_mul_f32 v[210:211], v[50:51], v[210:211]              // 000000004BEC: D3B140D2 1803A532
	v_pk_mul_f32 v[216:217], v[50:51], v[216:217]              // 000000004BF4: D3B140D8 1803B132
	v_pk_mul_f32 v[218:219], v[50:51], v[218:219]              // 000000004BFC: D3B140DA 1803B532
	v_mul_f32_dpp v50, v23, v31 row_newbcast:0 row_mask:0xf bank_mask:0xf// 000000004C04: 0A643EFA FF015017
	v_mov_b32_e32 v51, v50                                     // 000000004C0C: 7E660332
	v_pk_mul_f32 v[196:197], v[50:51], v[196:197]              // 000000004C10: D3B140C4 18038932
	v_pk_mul_f32 v[198:199], v[50:51], v[198:199]              // 000000004C18: D3B140C6 18038D32
	v_pk_mul_f32 v[204:205], v[50:51], v[204:205]              // 000000004C20: D3B140CC 18039932
	v_pk_mul_f32 v[206:207], v[50:51], v[206:207]              // 000000004C28: D3B140CE 18039D32
	v_mul_f32_dpp v50, v23, v31 row_newbcast:1 row_mask:0xf bank_mask:0xf// 000000004C30: 0A643EFA FF015117
	v_mov_b32_e32 v51, v50                                     // 000000004C38: 7E660332
	v_pk_mul_f32 v[212:213], v[50:51], v[212:213]              // 000000004C3C: D3B140D4 1803A932
	v_pk_mul_f32 v[214:215], v[50:51], v[214:215]              // 000000004C44: D3B140D6 1803AD32
	v_pk_mul_f32 v[220:221], v[50:51], v[220:221]              // 000000004C4C: D3B140DC 1803B932
	v_pk_mul_f32 v[222:223], v[50:51], v[222:223]              // 000000004C54: D3B140DE 1803BD32
	s_add_u32 s60, 0x200, s80                                  // 000000004C5C: 803C50FF 00000200
	s_cmp_lt_u32 s60, s81                                      // 000000004C64: BF0A513C
	s_cselect_b32 s56, s56, 0                                  // 000000004C68: 85388038
	s_cselect_b32 s78, s78, 0                                  // 000000004C6C: 854E804E
	s_cselect_b32 s79, s79, 0                                  // 000000004C70: 854F804F
	s_add_u32 s12, s56, s12                                    // 000000004C74: 800C0C38
	s_addc_u32 s13, 0, s13                                     // 000000004C78: 820D0D80
	s_add_u32 s16, s79, s16                                    // 000000004C7C: 8010104F
	s_addc_u32 s17, 0, s17                                     // 000000004C80: 82111180
	v_mov_b32_e32 v50, v25                                     // 000000004C84: 7E640319
	v_mov_b32_e32 v51, v25                                     // 000000004C88: 7E660319
	v_pk_mul_f32 v[192:193], v[50:51], v[192:193]              // 000000004C8C: D3B140C0 18038132
	v_pk_mul_f32 v[194:195], v[50:51], v[194:195]              // 000000004C94: D3B140C2 18038532
	v_pk_mul_f32 v[200:201], v[50:51], v[200:201]              // 000000004C9C: D3B140C8 18039132
	v_pk_mul_f32 v[202:203], v[50:51], v[202:203]              // 000000004CA4: D3B140CA 18039532
	v_pk_mul_f32 v[208:209], v[50:51], v[208:209]              // 000000004CAC: D3B140D0 1803A132
	v_pk_mul_f32 v[210:211], v[50:51], v[210:211]              // 000000004CB4: D3B140D2 1803A532
	v_pk_mul_f32 v[216:217], v[50:51], v[216:217]              // 000000004CBC: D3B140D8 1803B132
	v_pk_mul_f32 v[218:219], v[50:51], v[218:219]              // 000000004CC4: D3B140DA 1803B532
	v_mov_b32_e32 v50, v26                                     // 000000004CCC: 7E64031A
	v_mov_b32_e32 v51, v26                                     // 000000004CD0: 7E66031A
	v_pk_mul_f32 v[196:197], v[50:51], v[196:197]              // 000000004CD4: D3B140C4 18038932
	v_pk_mul_f32 v[198:199], v[50:51], v[198:199]              // 000000004CDC: D3B140C6 18038D32
	v_pk_mul_f32 v[204:205], v[50:51], v[204:205]              // 000000004CE4: D3B140CC 18039932
	v_pk_mul_f32 v[206:207], v[50:51], v[206:207]              // 000000004CEC: D3B140CE 18039D32
	v_pk_mul_f32 v[212:213], v[50:51], v[212:213]              // 000000004CF4: D3B140D4 1803A932
	v_pk_mul_f32 v[214:215], v[50:51], v[214:215]              // 000000004CFC: D3B140D6 1803AD32
	v_pk_mul_f32 v[220:221], v[50:51], v[220:221]              // 000000004D04: D3B140DC 1803B932
	v_pk_mul_f32 v[222:223], v[50:51], v[222:223]              // 000000004D0C: D3B140DE 1803BD32
	v_cmp_u_f32_e64 s[48:49], v192, v192                       // 000000004D14: D0480030 000381C0
	v_add3_u32 v46, v192, v49, 1                               // 000000004D1C: D1FF002E 020663C0
	v_cndmask_b32_e64 v50, v46, v48, s[48:49]                  // 000000004D24: D1000032 00C2612E
	v_cmp_u_f32_e64 s[48:49], v193, v193                       // 000000004D2C: D0480030 000383C1
	v_add3_u32 v46, v193, v49, 1                               // 000000004D34: D1FF002E 020663C1
	v_cndmask_b32_e64 v51, v46, v48, s[48:49]                  // 000000004D3C: D1000033 00C2612E
	v_perm_b32 v192, v51, v50, s52                             // 000000004D44: D1ED00C0 00D26533
	v_cmp_u_f32_e64 s[48:49], v194, v194                       // 000000004D4C: D0480030 000385C2
	v_add3_u32 v46, v194, v49, 1                               // 000000004D54: D1FF002E 020663C2
	v_cndmask_b32_e64 v50, v46, v48, s[48:49]                  // 000000004D5C: D1000032 00C2612E
	v_cmp_u_f32_e64 s[48:49], v195, v195                       // 000000004D64: D0480030 000387C3
	v_add3_u32 v46, v195, v49, 1                               // 000000004D6C: D1FF002E 020663C3
	v_cndmask_b32_e64 v51, v46, v48, s[48:49]                  // 000000004D74: D1000033 00C2612E
	v_perm_b32 v193, v51, v50, s52                             // 000000004D7C: D1ED00C1 00D26533
	v_cmp_u_f32_e64 s[48:49], v196, v196                       // 000000004D84: D0480030 000389C4
	v_add3_u32 v46, v196, v49, 1                               // 000000004D8C: D1FF002E 020663C4
	v_cndmask_b32_e64 v50, v46, v48, s[48:49]                  // 000000004D94: D1000032 00C2612E
	v_cmp_u_f32_e64 s[48:49], v197, v197                       // 000000004D9C: D0480030 00038BC5
	v_add3_u32 v46, v197, v49, 1                               // 000000004DA4: D1FF002E 020663C5
	v_cndmask_b32_e64 v51, v46, v48, s[48:49]                  // 000000004DAC: D1000033 00C2612E
	v_perm_b32 v194, v51, v50, s52                             // 000000004DB4: D1ED00C2 00D26533
	v_cmp_u_f32_e64 s[48:49], v198, v198                       // 000000004DBC: D0480030 00038DC6
	v_add3_u32 v46, v198, v49, 1                               // 000000004DC4: D1FF002E 020663C6
	v_cndmask_b32_e64 v50, v46, v48, s[48:49]                  // 000000004DCC: D1000032 00C2612E
	v_cmp_u_f32_e64 s[48:49], v199, v199                       // 000000004DD4: D0480030 00038FC7
	v_add3_u32 v46, v199, v49, 1                               // 000000004DDC: D1FF002E 020663C7
	v_cndmask_b32_e64 v51, v46, v48, s[48:49]                  // 000000004DE4: D1000033 00C2612E
	v_perm_b32 v195, v51, v50, s52                             // 000000004DEC: D1ED00C3 00D26533
	v_cmp_u_f32_e64 s[48:49], v200, v200                       // 000000004DF4: D0480030 000391C8
	v_add3_u32 v46, v200, v49, 1                               // 000000004DFC: D1FF002E 020663C8
	v_cndmask_b32_e64 v50, v46, v48, s[48:49]                  // 000000004E04: D1000032 00C2612E
	v_cmp_u_f32_e64 s[48:49], v201, v201                       // 000000004E0C: D0480030 000393C9
	v_add3_u32 v46, v201, v49, 1                               // 000000004E14: D1FF002E 020663C9
	v_cndmask_b32_e64 v51, v46, v48, s[48:49]                  // 000000004E1C: D1000033 00C2612E
	v_perm_b32 v196, v51, v50, s52                             // 000000004E24: D1ED00C4 00D26533
	v_cmp_u_f32_e64 s[48:49], v202, v202                       // 000000004E2C: D0480030 000395CA
	v_add3_u32 v46, v202, v49, 1                               // 000000004E34: D1FF002E 020663CA
	v_cndmask_b32_e64 v50, v46, v48, s[48:49]                  // 000000004E3C: D1000032 00C2612E
	v_cmp_u_f32_e64 s[48:49], v203, v203                       // 000000004E44: D0480030 000397CB
	v_add3_u32 v46, v203, v49, 1                               // 000000004E4C: D1FF002E 020663CB
	v_cndmask_b32_e64 v51, v46, v48, s[48:49]                  // 000000004E54: D1000033 00C2612E
	v_perm_b32 v197, v51, v50, s52                             // 000000004E5C: D1ED00C5 00D26533
	v_cmp_u_f32_e64 s[48:49], v204, v204                       // 000000004E64: D0480030 000399CC
	v_add3_u32 v46, v204, v49, 1                               // 000000004E6C: D1FF002E 020663CC
	v_cndmask_b32_e64 v50, v46, v48, s[48:49]                  // 000000004E74: D1000032 00C2612E
	v_cmp_u_f32_e64 s[48:49], v205, v205                       // 000000004E7C: D0480030 00039BCD
	v_add3_u32 v46, v205, v49, 1                               // 000000004E84: D1FF002E 020663CD
	v_cndmask_b32_e64 v51, v46, v48, s[48:49]                  // 000000004E8C: D1000033 00C2612E
	v_perm_b32 v198, v51, v50, s52                             // 000000004E94: D1ED00C6 00D26533
	v_cmp_u_f32_e64 s[48:49], v206, v206                       // 000000004E9C: D0480030 00039DCE
	v_add3_u32 v46, v206, v49, 1                               // 000000004EA4: D1FF002E 020663CE
	v_cndmask_b32_e64 v50, v46, v48, s[48:49]                  // 000000004EAC: D1000032 00C2612E
	v_cmp_u_f32_e64 s[48:49], v207, v207                       // 000000004EB4: D0480030 00039FCF
	v_add3_u32 v46, v207, v49, 1                               // 000000004EBC: D1FF002E 020663CF
	v_cndmask_b32_e64 v51, v46, v48, s[48:49]                  // 000000004EC4: D1000033 00C2612E
	v_perm_b32 v199, v51, v50, s52                             // 000000004ECC: D1ED00C7 00D26533
	v_cmp_u_f32_e64 s[48:49], v208, v208                       // 000000004ED4: D0480030 0003A1D0
	v_add3_u32 v46, v208, v49, 1                               // 000000004EDC: D1FF002E 020663D0
	v_cndmask_b32_e64 v50, v46, v48, s[48:49]                  // 000000004EE4: D1000032 00C2612E
	v_cmp_u_f32_e64 s[48:49], v209, v209                       // 000000004EEC: D0480030 0003A3D1
	v_add3_u32 v46, v209, v49, 1                               // 000000004EF4: D1FF002E 020663D1
	v_cndmask_b32_e64 v51, v46, v48, s[48:49]                  // 000000004EFC: D1000033 00C2612E
	v_perm_b32 v200, v51, v50, s52                             // 000000004F04: D1ED00C8 00D26533
	v_cmp_u_f32_e64 s[48:49], v210, v210                       // 000000004F0C: D0480030 0003A5D2
	v_add3_u32 v46, v210, v49, 1                               // 000000004F14: D1FF002E 020663D2
	v_cndmask_b32_e64 v50, v46, v48, s[48:49]                  // 000000004F1C: D1000032 00C2612E
	v_cmp_u_f32_e64 s[48:49], v211, v211                       // 000000004F24: D0480030 0003A7D3
	v_add3_u32 v46, v211, v49, 1                               // 000000004F2C: D1FF002E 020663D3
	v_cndmask_b32_e64 v51, v46, v48, s[48:49]                  // 000000004F34: D1000033 00C2612E
	v_perm_b32 v201, v51, v50, s52                             // 000000004F3C: D1ED00C9 00D26533
	v_cmp_u_f32_e64 s[48:49], v212, v212                       // 000000004F44: D0480030 0003A9D4
	v_add3_u32 v46, v212, v49, 1                               // 000000004F4C: D1FF002E 020663D4
	v_cndmask_b32_e64 v50, v46, v48, s[48:49]                  // 000000004F54: D1000032 00C2612E
	v_cmp_u_f32_e64 s[48:49], v213, v213                       // 000000004F5C: D0480030 0003ABD5
	v_add3_u32 v46, v213, v49, 1                               // 000000004F64: D1FF002E 020663D5
	v_cndmask_b32_e64 v51, v46, v48, s[48:49]                  // 000000004F6C: D1000033 00C2612E
	v_perm_b32 v202, v51, v50, s52                             // 000000004F74: D1ED00CA 00D26533
	v_cmp_u_f32_e64 s[48:49], v214, v214                       // 000000004F7C: D0480030 0003ADD6
	v_add3_u32 v46, v214, v49, 1                               // 000000004F84: D1FF002E 020663D6
	v_cndmask_b32_e64 v50, v46, v48, s[48:49]                  // 000000004F8C: D1000032 00C2612E
	v_cmp_u_f32_e64 s[48:49], v215, v215                       // 000000004F94: D0480030 0003AFD7
	v_add3_u32 v46, v215, v49, 1                               // 000000004F9C: D1FF002E 020663D7
	v_cndmask_b32_e64 v51, v46, v48, s[48:49]                  // 000000004FA4: D1000033 00C2612E
	v_perm_b32 v203, v51, v50, s52                             // 000000004FAC: D1ED00CB 00D26533
	v_cmp_u_f32_e64 s[48:49], v216, v216                       // 000000004FB4: D0480030 0003B1D8
	v_add3_u32 v46, v216, v49, 1                               // 000000004FBC: D1FF002E 020663D8
	v_cndmask_b32_e64 v50, v46, v48, s[48:49]                  // 000000004FC4: D1000032 00C2612E
	v_cmp_u_f32_e64 s[48:49], v217, v217                       // 000000004FCC: D0480030 0003B3D9
	v_add3_u32 v46, v217, v49, 1                               // 000000004FD4: D1FF002E 020663D9
	v_cndmask_b32_e64 v51, v46, v48, s[48:49]                  // 000000004FDC: D1000033 00C2612E
	v_perm_b32 v204, v51, v50, s52                             // 000000004FE4: D1ED00CC 00D26533
	v_cmp_u_f32_e64 s[48:49], v218, v218                       // 000000004FEC: D0480030 0003B5DA
	v_add3_u32 v46, v218, v49, 1                               // 000000004FF4: D1FF002E 020663DA
	v_cndmask_b32_e64 v50, v46, v48, s[48:49]                  // 000000004FFC: D1000032 00C2612E
	v_cmp_u_f32_e64 s[48:49], v219, v219                       // 000000005004: D0480030 0003B7DB
	v_add3_u32 v46, v219, v49, 1                               // 00000000500C: D1FF002E 020663DB
	v_cndmask_b32_e64 v51, v46, v48, s[48:49]                  // 000000005014: D1000033 00C2612E
	v_perm_b32 v205, v51, v50, s52                             // 00000000501C: D1ED00CD 00D26533
	v_cmp_u_f32_e64 s[48:49], v220, v220                       // 000000005024: D0480030 0003B9DC
	v_add3_u32 v46, v220, v49, 1                               // 00000000502C: D1FF002E 020663DC
	v_cndmask_b32_e64 v50, v46, v48, s[48:49]                  // 000000005034: D1000032 00C2612E
	v_cmp_u_f32_e64 s[48:49], v221, v221                       // 00000000503C: D0480030 0003BBDD
	v_add3_u32 v46, v221, v49, 1                               // 000000005044: D1FF002E 020663DD
	v_cndmask_b32_e64 v51, v46, v48, s[48:49]                  // 00000000504C: D1000033 00C2612E
	v_perm_b32 v206, v51, v50, s52                             // 000000005054: D1ED00CE 00D26533
	v_cmp_u_f32_e64 s[48:49], v222, v222                       // 00000000505C: D0480030 0003BDDE
	v_add3_u32 v46, v222, v49, 1                               // 000000005064: D1FF002E 020663DE
	v_cndmask_b32_e64 v50, v46, v48, s[48:49]                  // 00000000506C: D1000032 00C2612E
	v_cmp_u_f32_e64 s[48:49], v223, v223                       // 000000005074: D0480030 0003BFDF
	v_add3_u32 v46, v223, v49, 1                               // 00000000507C: D1FF002E 020663DF
	v_cndmask_b32_e64 v51, v46, v48, s[48:49]                  // 000000005084: D1000033 00C2612E
	v_perm_b32 v207, v51, v50, s52                             // 00000000508C: D1ED00CF 00D26533
	ds_write_b64 v4, v[192:193] offset:24832                   // 000000005094: D89A6100 0000C004
	ds_write_b64 v4, v[194:195] offset:33536                   // 00000000509C: D89A8300 0000C204
	ds_write_b64 v4, v[196:197] offset:27008                   // 0000000050A4: D89A6980 0000C404
	ds_write_b64 v4, v[198:199] offset:35712                   // 0000000050AC: D89A8B80 0000C604
	ds_write_b64 v4, v[200:201] offset:29184                   // 0000000050B4: D89A7200 0000C804
	ds_write_b64 v4, v[202:203] offset:37888                   // 0000000050BC: D89A9400 0000CA04
	ds_write_b64 v4, v[204:205] offset:31360                   // 0000000050C4: D89A7A80 0000CC04
	ds_write_b64 v4, v[206:207] offset:40064                   // 0000000050CC: D89A9C80 0000CE04
	s_waitcnt lgkmcnt(0)                                       // 0000000050D4: BF8CC07F
	s_barrier                                                  // 0000000050D8: BF8A0000
	ds_read_b32 v64, v5 offset:24832                           // 0000000050DC: D86C6100 40000005
	ds_read_b32 v65, v5 offset:29184                           // 0000000050E4: D86C7200 41000005
	ds_read_b32 v66, v5 offset:24864                           // 0000000050EC: D86C6120 42000005
	ds_read_b32 v67, v5 offset:29216                           // 0000000050F4: D86C7220 43000005
	ds_read_b32 v68, v5 offset:24896                           // 0000000050FC: D86C6140 44000005
	ds_read_b32 v69, v5 offset:29248                           // 000000005104: D86C7240 45000005
	ds_read_b32 v70, v5 offset:24928                           // 00000000510C: D86C6160 46000005
	ds_read_b32 v71, v5 offset:29280                           // 000000005114: D86C7260 47000005
	ds_read_b32 v72, v5 offset:33536                           // 00000000511C: D86C8300 48000005
	ds_read_b32 v73, v5 offset:37888                           // 000000005124: D86C9400 49000005
	ds_read_b32 v74, v5 offset:33568                           // 00000000512C: D86C8320 4A000005
	ds_read_b32 v75, v5 offset:37920                           // 000000005134: D86C9420 4B000005
	ds_read_b32 v76, v5 offset:33600                           // 00000000513C: D86C8340 4C000005
	ds_read_b32 v77, v5 offset:37952                           // 000000005144: D86C9440 4D000005
	ds_read_b32 v78, v5 offset:33632                           // 00000000514C: D86C8360 4E000005
	ds_read_b32 v79, v5 offset:37984                           // 000000005154: D86C9460 4F000005
	s_waitcnt lgkmcnt(0)                                       // 00000000515C: BF8CC07F
	s_setvskip s20, 0                                          // 000000005160: BF108014
	global_atomic_pk_add_bf16 v80, v64, s[8:9]                 // 000000005164: DD488000 00084050
	s_setvskip 0, 0                                            // 00000000516C: BF108080
	s_setvskip s20, 0                                          // 000000005170: BF108014
	global_atomic_pk_add_bf16 v80, v65, s[8:9] offset:256      // 000000005174: DD488100 00084150
	s_setvskip 0, 0                                            // 00000000517C: BF108080
	s_setvskip s20, 1                                          // 000000005180: BF108114
	global_atomic_pk_add_bf16 v82, v66, s[8:9]                 // 000000005184: DD488000 00084252
	s_setvskip 0, 0                                            // 00000000518C: BF108080
	s_setvskip s20, 1                                          // 000000005190: BF108114
	global_atomic_pk_add_bf16 v82, v67, s[8:9] offset:256      // 000000005194: DD488100 00084352
	s_setvskip 0, 0                                            // 00000000519C: BF108080
	s_setvskip s20, 2                                          // 0000000051A0: BF108214
	global_atomic_pk_add_bf16 v84, v68, s[8:9]                 // 0000000051A4: DD488000 00084454
	s_setvskip 0, 0                                            // 0000000051AC: BF108080
	s_setvskip s20, 2                                          // 0000000051B0: BF108214
	global_atomic_pk_add_bf16 v84, v69, s[8:9] offset:256      // 0000000051B4: DD488100 00084554
	s_setvskip 0, 0                                            // 0000000051BC: BF108080
	s_setvskip s20, 3                                          // 0000000051C0: BF108314
	global_atomic_pk_add_bf16 v86, v70, s[8:9]                 // 0000000051C4: DD488000 00084656
	s_setvskip 0, 0                                            // 0000000051CC: BF108080
	s_setvskip s20, 3                                          // 0000000051D0: BF108314
	global_atomic_pk_add_bf16 v86, v71, s[8:9] offset:256      // 0000000051D4: DD488100 00084756
	s_setvskip 0, 0                                            // 0000000051DC: BF108080
	s_setvskip s20, 4                                          // 0000000051E0: BF108414
	global_atomic_pk_add_bf16 v88, v72, s[8:9]                 // 0000000051E4: DD488000 00084858
	s_setvskip 0, 0                                            // 0000000051EC: BF108080
	s_setvskip s20, 4                                          // 0000000051F0: BF108414
	global_atomic_pk_add_bf16 v88, v73, s[8:9] offset:256      // 0000000051F4: DD488100 00084958
	s_setvskip 0, 0                                            // 0000000051FC: BF108080
	s_setvskip s20, 5                                          // 000000005200: BF108514
	global_atomic_pk_add_bf16 v90, v74, s[8:9]                 // 000000005204: DD488000 00084A5A
	s_setvskip 0, 0                                            // 00000000520C: BF108080
	s_setvskip s20, 5                                          // 000000005210: BF108514
	global_atomic_pk_add_bf16 v90, v75, s[8:9] offset:256      // 000000005214: DD488100 00084B5A
	s_setvskip 0, 0                                            // 00000000521C: BF108080
	s_setvskip s20, 6                                          // 000000005220: BF108614
	global_atomic_pk_add_bf16 v92, v76, s[8:9]                 // 000000005224: DD488000 00084C5C
	s_setvskip 0, 0                                            // 00000000522C: BF108080
	s_setvskip s20, 6                                          // 000000005230: BF108614
	global_atomic_pk_add_bf16 v92, v77, s[8:9] offset:256      // 000000005234: DD488100 00084D5C
	s_setvskip 0, 0                                            // 00000000523C: BF108080
	s_setvskip s20, 7                                          // 000000005240: BF108714
	global_atomic_pk_add_bf16 v94, v78, s[8:9]                 // 000000005244: DD488000 00084E5E
	s_setvskip 0, 0                                            // 00000000524C: BF108080
	s_setvskip s20, 7                                          // 000000005250: BF108714
	global_atomic_pk_add_bf16 v94, v79, s[8:9] offset:256      // 000000005254: DD488100 00084F5E
	s_setvskip 0, 0                                            // 00000000525C: BF108080
	s_add_u32 s8, s59, s8                                      // 000000005260: 8008083B
	s_addc_u32 s9, 0, s9                                       // 000000005264: 82090980
	s_addk_i32 s80, 0x100                                      // 000000005268: B7500100
	s_cmp_lt_i32 s80, s81                                      // 00000000526C: BF045150
	s_cbranch_scc0 label_0B27                                  // 000000005270: BF84020A
	s_waitcnt vmcnt(4)                                         // 000000005274: BF8C0F74
	s_barrier                                                  // 000000005278: BF8A0000
	v_mfma_f32_16x16x32_fp8_fp8 v[224:227], a[32:33], v[128:129], 0// 00000000527C: D3F300E0 0A030120
	v_mfma_f32_16x16x32_fp8_fp8 v[224:227], a[34:35], v[130:131], v[224:227]// 000000005284: D3F300E0 0F830522
	buffer_load_dwordx4 a[0:3], v42, s[12:15], 0 offen         // 00000000528C: E05C1000 8083002A
	v_mfma_f32_16x16x32_fp8_fp8 v[228:231], a[32:33], v[136:137], 0// 000000005294: D3F300E4 0A031120
	v_mfma_f32_16x16x32_fp8_fp8 v[228:231], a[34:35], v[138:139], v[228:231]// 00000000529C: D3F300E4 0F931522
	buffer_load_dword v23, v6, s[16:19], 0 offen               // 0000000052A4: E0501000 80041706
	v_mfma_f32_16x16x32_fp8_fp8 v[232:235], a[36:37], v[128:129], 0// 0000000052AC: D3F300E8 0A030124
	v_mfma_f32_16x16x32_fp8_fp8 v[232:235], a[38:39], v[130:131], v[232:235]// 0000000052B4: D3F300E8 0FA30526
	buffer_load_dwordx4 a[4:7], v43, s[12:15], 0 offen         // 0000000052BC: E05C1000 8083042B
	v_mfma_f32_16x16x32_fp8_fp8 v[236:239], a[36:37], v[136:137], 0// 0000000052C4: D3F300EC 0A031124
	v_mfma_f32_16x16x32_fp8_fp8 v[236:239], a[38:39], v[138:139], v[236:239]// 0000000052CC: D3F300EC 0FB31526
	v_mfma_f32_16x16x32_fp8_fp8 v[240:243], a[40:41], v[128:129], 0// 0000000052D4: D3F300F0 0A030128
	v_mfma_f32_16x16x32_fp8_fp8 v[240:243], a[42:43], v[130:131], v[240:243]// 0000000052DC: D3F300F0 0FC3052A
	buffer_load_dwordx4 a[8:11], v44, s[12:15], 0 offen        // 0000000052E4: E05C1000 8083082C
	v_mfma_f32_16x16x32_fp8_fp8 v[244:247], a[40:41], v[136:137], 0// 0000000052EC: D3F300F4 0A031128
	v_mfma_f32_16x16x32_fp8_fp8 v[244:247], a[42:43], v[138:139], v[244:247]// 0000000052F4: D3F300F4 0FD3152A
	v_mfma_f32_16x16x32_fp8_fp8 v[248:251], a[44:45], v[128:129], 0// 0000000052FC: D3F300F8 0A03012C
	v_mfma_f32_16x16x32_fp8_fp8 v[248:251], a[46:47], v[130:131], v[248:251]// 000000005304: D3F300F8 0FE3052E
	buffer_load_dwordx4 a[12:15], v45, s[12:15], 0 offen       // 00000000530C: E05C1000 80830C2D
	s_add_u32 s12, s78, s12                                    // 000000005314: 800C0C4E
	s_addc_u32 s13, 0, s13                                     // 000000005318: 820D0D80
	v_mfma_f32_16x16x32_fp8_fp8 v[252:255], a[44:45], v[136:137], 0// 00000000531C: D3F300FC 0A03112C
	v_mfma_f32_16x16x32_fp8_fp8 v[252:255], a[46:47], v[138:139], v[252:255]// 000000005324: D3F300FC 0FF3152E
	s_waitcnt vmcnt(5)                                         // 00000000532C: BF8C0F75
	v_mfma_f32_16x16x32_fp8_fp8 v[224:227], a[48:49], v[132:133], v[224:227]// 000000005330: D3F300E0 0F830930
	v_mfma_f32_16x16x32_fp8_fp8 v[224:227], a[50:51], v[134:135], v[224:227]// 000000005338: D3F300E0 0F830D32
	buffer_load_dwordx4 a[16:19], v42, s[12:15], 0 offen       // 000000005340: E05C1000 8083102A
	v_mfma_f32_16x16x32_fp8_fp8 v[228:231], a[48:49], v[140:141], v[228:231]// 000000005348: D3F300E4 0F931930
	v_mfma_f32_16x16x32_fp8_fp8 v[228:231], a[50:51], v[142:143], v[228:231]// 000000005350: D3F300E4 0F931D32
	v_mfma_f32_16x16x32_fp8_fp8 v[232:235], a[52:53], v[132:133], v[232:235]// 000000005358: D3F300E8 0FA30934
	v_mfma_f32_16x16x32_fp8_fp8 v[232:235], a[54:55], v[134:135], v[232:235]// 000000005360: D3F300E8 0FA30D36
	buffer_load_dwordx4 a[20:23], v43, s[12:15], 0 offen       // 000000005368: E05C1000 8083142B
	v_mfma_f32_16x16x32_fp8_fp8 v[236:239], a[52:53], v[140:141], v[236:239]// 000000005370: D3F300EC 0FB31934
	v_mfma_f32_16x16x32_fp8_fp8 v[236:239], a[54:55], v[142:143], v[236:239]// 000000005378: D3F300EC 0FB31D36
	v_mfma_f32_16x16x32_fp8_fp8 v[240:243], a[56:57], v[132:133], v[240:243]// 000000005380: D3F300F0 0FC30938
	v_mfma_f32_16x16x32_fp8_fp8 v[240:243], a[58:59], v[134:135], v[240:243]// 000000005388: D3F300F0 0FC30D3A
	buffer_load_dwordx4 a[24:27], v44, s[12:15], 0 offen       // 000000005390: E05C1000 8083182C
	v_mfma_f32_16x16x32_fp8_fp8 v[244:247], a[56:57], v[140:141], v[244:247]// 000000005398: D3F300F4 0FD31938
	v_mfma_f32_16x16x32_fp8_fp8 v[244:247], a[58:59], v[142:143], v[244:247]// 0000000053A0: D3F300F4 0FD31D3A
	v_mfma_f32_16x16x32_fp8_fp8 v[248:251], a[60:61], v[132:133], v[248:251]// 0000000053A8: D3F300F8 0FE3093C
	v_mfma_f32_16x16x32_fp8_fp8 v[248:251], a[62:63], v[134:135], v[248:251]// 0000000053B0: D3F300F8 0FE30D3E
	buffer_load_dwordx4 a[28:31], v45, s[12:15], 0 offen       // 0000000053B8: E05C1000 80831C2D
	v_mfma_f32_16x16x32_fp8_fp8 v[252:255], a[60:61], v[140:141], v[252:255]// 0000000053C0: D3F300FC 0FF3193C
	v_mfma_f32_16x16x32_fp8_fp8 v[252:255], a[62:63], v[142:143], v[252:255]// 0000000053C8: D3F300FC 0FF31D3E
	v_mul_f32_dpp v50, v24, v30 row_newbcast:0 row_mask:0xf bank_mask:0xf// 0000000053D0: 0A643CFA FF015018
	v_mov_b32_e32 v51, v50                                     // 0000000053D8: 7E660332
	v_pk_mul_f32 v[224:225], v[50:51], v[224:225]              // 0000000053DC: D3B140E0 1803C132
	v_pk_mul_f32 v[226:227], v[50:51], v[226:227]              // 0000000053E4: D3B140E2 1803C532
	v_pk_mul_f32 v[232:233], v[50:51], v[232:233]              // 0000000053EC: D3B140E8 1803D132
	v_pk_mul_f32 v[234:235], v[50:51], v[234:235]              // 0000000053F4: D3B140EA 1803D532
	v_mul_f32_dpp v50, v24, v30 row_newbcast:1 row_mask:0xf bank_mask:0xf// 0000000053FC: 0A643CFA FF015118
	v_mov_b32_e32 v51, v50                                     // 000000005404: 7E660332
	v_pk_mul_f32 v[240:241], v[50:51], v[240:241]              // 000000005408: D3B140F0 1803E132
	v_pk_mul_f32 v[242:243], v[50:51], v[242:243]              // 000000005410: D3B140F2 1803E532
	v_pk_mul_f32 v[248:249], v[50:51], v[248:249]              // 000000005418: D3B140F8 1803F132
	v_pk_mul_f32 v[250:251], v[50:51], v[250:251]              // 000000005420: D3B140FA 1803F532
	v_mul_f32_dpp v50, v24, v31 row_newbcast:0 row_mask:0xf bank_mask:0xf// 000000005428: 0A643EFA FF015018
	v_mov_b32_e32 v51, v50                                     // 000000005430: 7E660332
	v_pk_mul_f32 v[228:229], v[50:51], v[228:229]              // 000000005434: D3B140E4 1803C932
	v_pk_mul_f32 v[230:231], v[50:51], v[230:231]              // 00000000543C: D3B140E6 1803CD32
	v_pk_mul_f32 v[236:237], v[50:51], v[236:237]              // 000000005444: D3B140EC 1803D932
	v_pk_mul_f32 v[238:239], v[50:51], v[238:239]              // 00000000544C: D3B140EE 1803DD32
	v_mul_f32_dpp v50, v24, v31 row_newbcast:1 row_mask:0xf bank_mask:0xf// 000000005454: 0A643EFA FF015118
	v_mov_b32_e32 v51, v50                                     // 00000000545C: 7E660332
	v_pk_mul_f32 v[244:245], v[50:51], v[244:245]              // 000000005460: D3B140F4 1803E932
	v_pk_mul_f32 v[246:247], v[50:51], v[246:247]              // 000000005468: D3B140F6 1803ED32
	v_pk_mul_f32 v[252:253], v[50:51], v[252:253]              // 000000005470: D3B140FC 1803F932
	v_pk_mul_f32 v[254:255], v[50:51], v[254:255]              // 000000005478: D3B140FE 1803FD32
	s_add_u32 s60, 0x200, s80                                  // 000000005480: 803C50FF 00000200
	s_cmp_lt_u32 s60, s81                                      // 000000005488: BF0A513C
	s_cselect_b32 s56, s56, 0                                  // 00000000548C: 85388038
	s_cselect_b32 s78, s78, 0                                  // 000000005490: 854E804E
	s_cselect_b32 s79, s79, 0                                  // 000000005494: 854F804F
	s_add_u32 s12, s56, s12                                    // 000000005498: 800C0C38
	s_addc_u32 s13, 0, s13                                     // 00000000549C: 820D0D80
	s_add_u32 s16, s79, s16                                    // 0000000054A0: 8010104F
	s_addc_u32 s17, 0, s17                                     // 0000000054A4: 82111180
	v_mov_b32_e32 v50, v25                                     // 0000000054A8: 7E640319
	v_mov_b32_e32 v51, v25                                     // 0000000054AC: 7E660319
	v_pk_mul_f32 v[224:225], v[50:51], v[224:225]              // 0000000054B0: D3B140E0 1803C132
	v_pk_mul_f32 v[226:227], v[50:51], v[226:227]              // 0000000054B8: D3B140E2 1803C532
	v_pk_mul_f32 v[232:233], v[50:51], v[232:233]              // 0000000054C0: D3B140E8 1803D132
	v_pk_mul_f32 v[234:235], v[50:51], v[234:235]              // 0000000054C8: D3B140EA 1803D532
	v_pk_mul_f32 v[240:241], v[50:51], v[240:241]              // 0000000054D0: D3B140F0 1803E132
	v_pk_mul_f32 v[242:243], v[50:51], v[242:243]              // 0000000054D8: D3B140F2 1803E532
	v_pk_mul_f32 v[248:249], v[50:51], v[248:249]              // 0000000054E0: D3B140F8 1803F132
	v_pk_mul_f32 v[250:251], v[50:51], v[250:251]              // 0000000054E8: D3B140FA 1803F532
	v_mov_b32_e32 v50, v26                                     // 0000000054F0: 7E64031A
	v_mov_b32_e32 v51, v26                                     // 0000000054F4: 7E66031A
	v_pk_mul_f32 v[228:229], v[50:51], v[228:229]              // 0000000054F8: D3B140E4 1803C932
	v_pk_mul_f32 v[230:231], v[50:51], v[230:231]              // 000000005500: D3B140E6 1803CD32
	v_pk_mul_f32 v[236:237], v[50:51], v[236:237]              // 000000005508: D3B140EC 1803D932
	v_pk_mul_f32 v[238:239], v[50:51], v[238:239]              // 000000005510: D3B140EE 1803DD32
	v_pk_mul_f32 v[244:245], v[50:51], v[244:245]              // 000000005518: D3B140F4 1803E932
	v_pk_mul_f32 v[246:247], v[50:51], v[246:247]              // 000000005520: D3B140F6 1803ED32
	v_pk_mul_f32 v[252:253], v[50:51], v[252:253]              // 000000005528: D3B140FC 1803F932
	v_pk_mul_f32 v[254:255], v[50:51], v[254:255]              // 000000005530: D3B140FE 1803FD32
	v_cmp_u_f32_e64 s[48:49], v224, v224                       // 000000005538: D0480030 0003C1E0
	v_add3_u32 v46, v224, v49, 1                               // 000000005540: D1FF002E 020663E0
	v_cndmask_b32_e64 v50, v46, v48, s[48:49]                  // 000000005548: D1000032 00C2612E
	v_cmp_u_f32_e64 s[48:49], v225, v225                       // 000000005550: D0480030 0003C3E1
	v_add3_u32 v46, v225, v49, 1                               // 000000005558: D1FF002E 020663E1
	v_cndmask_b32_e64 v51, v46, v48, s[48:49]                  // 000000005560: D1000033 00C2612E
	v_perm_b32 v224, v51, v50, s52                             // 000000005568: D1ED00E0 00D26533
	v_cmp_u_f32_e64 s[48:49], v226, v226                       // 000000005570: D0480030 0003C5E2
	v_add3_u32 v46, v226, v49, 1                               // 000000005578: D1FF002E 020663E2
	v_cndmask_b32_e64 v50, v46, v48, s[48:49]                  // 000000005580: D1000032 00C2612E
	v_cmp_u_f32_e64 s[48:49], v227, v227                       // 000000005588: D0480030 0003C7E3
	v_add3_u32 v46, v227, v49, 1                               // 000000005590: D1FF002E 020663E3
	v_cndmask_b32_e64 v51, v46, v48, s[48:49]                  // 000000005598: D1000033 00C2612E
	v_perm_b32 v225, v51, v50, s52                             // 0000000055A0: D1ED00E1 00D26533
	v_cmp_u_f32_e64 s[48:49], v228, v228                       // 0000000055A8: D0480030 0003C9E4
	v_add3_u32 v46, v228, v49, 1                               // 0000000055B0: D1FF002E 020663E4
	v_cndmask_b32_e64 v50, v46, v48, s[48:49]                  // 0000000055B8: D1000032 00C2612E
	v_cmp_u_f32_e64 s[48:49], v229, v229                       // 0000000055C0: D0480030 0003CBE5
	v_add3_u32 v46, v229, v49, 1                               // 0000000055C8: D1FF002E 020663E5
	v_cndmask_b32_e64 v51, v46, v48, s[48:49]                  // 0000000055D0: D1000033 00C2612E
	v_perm_b32 v226, v51, v50, s52                             // 0000000055D8: D1ED00E2 00D26533
	v_cmp_u_f32_e64 s[48:49], v230, v230                       // 0000000055E0: D0480030 0003CDE6
	v_add3_u32 v46, v230, v49, 1                               // 0000000055E8: D1FF002E 020663E6
	v_cndmask_b32_e64 v50, v46, v48, s[48:49]                  // 0000000055F0: D1000032 00C2612E
	v_cmp_u_f32_e64 s[48:49], v231, v231                       // 0000000055F8: D0480030 0003CFE7
	v_add3_u32 v46, v231, v49, 1                               // 000000005600: D1FF002E 020663E7
	v_cndmask_b32_e64 v51, v46, v48, s[48:49]                  // 000000005608: D1000033 00C2612E
	v_perm_b32 v227, v51, v50, s52                             // 000000005610: D1ED00E3 00D26533
	v_cmp_u_f32_e64 s[48:49], v232, v232                       // 000000005618: D0480030 0003D1E8
	v_add3_u32 v46, v232, v49, 1                               // 000000005620: D1FF002E 020663E8
	v_cndmask_b32_e64 v50, v46, v48, s[48:49]                  // 000000005628: D1000032 00C2612E
	v_cmp_u_f32_e64 s[48:49], v233, v233                       // 000000005630: D0480030 0003D3E9
	v_add3_u32 v46, v233, v49, 1                               // 000000005638: D1FF002E 020663E9
	v_cndmask_b32_e64 v51, v46, v48, s[48:49]                  // 000000005640: D1000033 00C2612E
	v_perm_b32 v228, v51, v50, s52                             // 000000005648: D1ED00E4 00D26533
	v_cmp_u_f32_e64 s[48:49], v234, v234                       // 000000005650: D0480030 0003D5EA
	v_add3_u32 v46, v234, v49, 1                               // 000000005658: D1FF002E 020663EA
	v_cndmask_b32_e64 v50, v46, v48, s[48:49]                  // 000000005660: D1000032 00C2612E
	v_cmp_u_f32_e64 s[48:49], v235, v235                       // 000000005668: D0480030 0003D7EB
	v_add3_u32 v46, v235, v49, 1                               // 000000005670: D1FF002E 020663EB
	v_cndmask_b32_e64 v51, v46, v48, s[48:49]                  // 000000005678: D1000033 00C2612E
	v_perm_b32 v229, v51, v50, s52                             // 000000005680: D1ED00E5 00D26533
	v_cmp_u_f32_e64 s[48:49], v236, v236                       // 000000005688: D0480030 0003D9EC
	v_add3_u32 v46, v236, v49, 1                               // 000000005690: D1FF002E 020663EC
	v_cndmask_b32_e64 v50, v46, v48, s[48:49]                  // 000000005698: D1000032 00C2612E
	v_cmp_u_f32_e64 s[48:49], v237, v237                       // 0000000056A0: D0480030 0003DBED
	v_add3_u32 v46, v237, v49, 1                               // 0000000056A8: D1FF002E 020663ED
	v_cndmask_b32_e64 v51, v46, v48, s[48:49]                  // 0000000056B0: D1000033 00C2612E
	v_perm_b32 v230, v51, v50, s52                             // 0000000056B8: D1ED00E6 00D26533
	v_cmp_u_f32_e64 s[48:49], v238, v238                       // 0000000056C0: D0480030 0003DDEE
	v_add3_u32 v46, v238, v49, 1                               // 0000000056C8: D1FF002E 020663EE
	v_cndmask_b32_e64 v50, v46, v48, s[48:49]                  // 0000000056D0: D1000032 00C2612E
	v_cmp_u_f32_e64 s[48:49], v239, v239                       // 0000000056D8: D0480030 0003DFEF
	v_add3_u32 v46, v239, v49, 1                               // 0000000056E0: D1FF002E 020663EF
	v_cndmask_b32_e64 v51, v46, v48, s[48:49]                  // 0000000056E8: D1000033 00C2612E
	v_perm_b32 v231, v51, v50, s52                             // 0000000056F0: D1ED00E7 00D26533
	v_cmp_u_f32_e64 s[48:49], v240, v240                       // 0000000056F8: D0480030 0003E1F0
	v_add3_u32 v46, v240, v49, 1                               // 000000005700: D1FF002E 020663F0
	v_cndmask_b32_e64 v50, v46, v48, s[48:49]                  // 000000005708: D1000032 00C2612E
	v_cmp_u_f32_e64 s[48:49], v241, v241                       // 000000005710: D0480030 0003E3F1
	v_add3_u32 v46, v241, v49, 1                               // 000000005718: D1FF002E 020663F1
	v_cndmask_b32_e64 v51, v46, v48, s[48:49]                  // 000000005720: D1000033 00C2612E
	v_perm_b32 v232, v51, v50, s52                             // 000000005728: D1ED00E8 00D26533
	v_cmp_u_f32_e64 s[48:49], v242, v242                       // 000000005730: D0480030 0003E5F2
	v_add3_u32 v46, v242, v49, 1                               // 000000005738: D1FF002E 020663F2
	v_cndmask_b32_e64 v50, v46, v48, s[48:49]                  // 000000005740: D1000032 00C2612E
	v_cmp_u_f32_e64 s[48:49], v243, v243                       // 000000005748: D0480030 0003E7F3
	v_add3_u32 v46, v243, v49, 1                               // 000000005750: D1FF002E 020663F3
	v_cndmask_b32_e64 v51, v46, v48, s[48:49]                  // 000000005758: D1000033 00C2612E
	v_perm_b32 v233, v51, v50, s52                             // 000000005760: D1ED00E9 00D26533
	v_cmp_u_f32_e64 s[48:49], v244, v244                       // 000000005768: D0480030 0003E9F4
	v_add3_u32 v46, v244, v49, 1                               // 000000005770: D1FF002E 020663F4
	v_cndmask_b32_e64 v50, v46, v48, s[48:49]                  // 000000005778: D1000032 00C2612E
	v_cmp_u_f32_e64 s[48:49], v245, v245                       // 000000005780: D0480030 0003EBF5
	v_add3_u32 v46, v245, v49, 1                               // 000000005788: D1FF002E 020663F5
	v_cndmask_b32_e64 v51, v46, v48, s[48:49]                  // 000000005790: D1000033 00C2612E
	v_perm_b32 v234, v51, v50, s52                             // 000000005798: D1ED00EA 00D26533
	v_cmp_u_f32_e64 s[48:49], v246, v246                       // 0000000057A0: D0480030 0003EDF6
	v_add3_u32 v46, v246, v49, 1                               // 0000000057A8: D1FF002E 020663F6
	v_cndmask_b32_e64 v50, v46, v48, s[48:49]                  // 0000000057B0: D1000032 00C2612E
	v_cmp_u_f32_e64 s[48:49], v247, v247                       // 0000000057B8: D0480030 0003EFF7
	v_add3_u32 v46, v247, v49, 1                               // 0000000057C0: D1FF002E 020663F7
	v_cndmask_b32_e64 v51, v46, v48, s[48:49]                  // 0000000057C8: D1000033 00C2612E
	v_perm_b32 v235, v51, v50, s52                             // 0000000057D0: D1ED00EB 00D26533
	v_cmp_u_f32_e64 s[48:49], v248, v248                       // 0000000057D8: D0480030 0003F1F8
	v_add3_u32 v46, v248, v49, 1                               // 0000000057E0: D1FF002E 020663F8
	v_cndmask_b32_e64 v50, v46, v48, s[48:49]                  // 0000000057E8: D1000032 00C2612E
	v_cmp_u_f32_e64 s[48:49], v249, v249                       // 0000000057F0: D0480030 0003F3F9
	v_add3_u32 v46, v249, v49, 1                               // 0000000057F8: D1FF002E 020663F9
	v_cndmask_b32_e64 v51, v46, v48, s[48:49]                  // 000000005800: D1000033 00C2612E
	v_perm_b32 v236, v51, v50, s52                             // 000000005808: D1ED00EC 00D26533
	v_cmp_u_f32_e64 s[48:49], v250, v250                       // 000000005810: D0480030 0003F5FA
	v_add3_u32 v46, v250, v49, 1                               // 000000005818: D1FF002E 020663FA
	v_cndmask_b32_e64 v50, v46, v48, s[48:49]                  // 000000005820: D1000032 00C2612E
	v_cmp_u_f32_e64 s[48:49], v251, v251                       // 000000005828: D0480030 0003F7FB
	v_add3_u32 v46, v251, v49, 1                               // 000000005830: D1FF002E 020663FB
	v_cndmask_b32_e64 v51, v46, v48, s[48:49]                  // 000000005838: D1000033 00C2612E
	v_perm_b32 v237, v51, v50, s52                             // 000000005840: D1ED00ED 00D26533
	v_cmp_u_f32_e64 s[48:49], v252, v252                       // 000000005848: D0480030 0003F9FC
	v_add3_u32 v46, v252, v49, 1                               // 000000005850: D1FF002E 020663FC
	v_cndmask_b32_e64 v50, v46, v48, s[48:49]                  // 000000005858: D1000032 00C2612E
	v_cmp_u_f32_e64 s[48:49], v253, v253                       // 000000005860: D0480030 0003FBFD
	v_add3_u32 v46, v253, v49, 1                               // 000000005868: D1FF002E 020663FD
	v_cndmask_b32_e64 v51, v46, v48, s[48:49]                  // 000000005870: D1000033 00C2612E
	v_perm_b32 v238, v51, v50, s52                             // 000000005878: D1ED00EE 00D26533
	v_cmp_u_f32_e64 s[48:49], v254, v254                       // 000000005880: D0480030 0003FDFE
	v_add3_u32 v46, v254, v49, 1                               // 000000005888: D1FF002E 020663FE
	v_cndmask_b32_e64 v50, v46, v48, s[48:49]                  // 000000005890: D1000032 00C2612E
	v_cmp_u_f32_e64 s[48:49], v255, v255                       // 000000005898: D0480030 0003FFFF
	v_add3_u32 v46, v255, v49, 1                               // 0000000058A0: D1FF002E 020663FF
	v_cndmask_b32_e64 v51, v46, v48, s[48:49]                  // 0000000058A8: D1000033 00C2612E
	v_perm_b32 v239, v51, v50, s52                             // 0000000058B0: D1ED00EF 00D26533
	ds_write_b64 v4, v[224:225] offset:24832                   // 0000000058B8: D89A6100 0000E004
	ds_write_b64 v4, v[226:227] offset:33536                   // 0000000058C0: D89A8300 0000E204
	ds_write_b64 v4, v[228:229] offset:27008                   // 0000000058C8: D89A6980 0000E404
	ds_write_b64 v4, v[230:231] offset:35712                   // 0000000058D0: D89A8B80 0000E604
	ds_write_b64 v4, v[232:233] offset:29184                   // 0000000058D8: D89A7200 0000E804
	ds_write_b64 v4, v[234:235] offset:37888                   // 0000000058E0: D89A9400 0000EA04
	ds_write_b64 v4, v[236:237] offset:31360                   // 0000000058E8: D89A7A80 0000EC04
	ds_write_b64 v4, v[238:239] offset:40064                   // 0000000058F0: D89A9C80 0000EE04
	s_waitcnt lgkmcnt(0)                                       // 0000000058F8: BF8CC07F
	s_barrier                                                  // 0000000058FC: BF8A0000
	ds_read_b32 v64, v5 offset:24832                           // 000000005900: D86C6100 40000005
	ds_read_b32 v65, v5 offset:29184                           // 000000005908: D86C7200 41000005
	ds_read_b32 v66, v5 offset:24864                           // 000000005910: D86C6120 42000005
	ds_read_b32 v67, v5 offset:29216                           // 000000005918: D86C7220 43000005
	ds_read_b32 v68, v5 offset:24896                           // 000000005920: D86C6140 44000005
	ds_read_b32 v69, v5 offset:29248                           // 000000005928: D86C7240 45000005
	ds_read_b32 v70, v5 offset:24928                           // 000000005930: D86C6160 46000005
	ds_read_b32 v71, v5 offset:29280                           // 000000005938: D86C7260 47000005
	ds_read_b32 v72, v5 offset:33536                           // 000000005940: D86C8300 48000005
	ds_read_b32 v73, v5 offset:37888                           // 000000005948: D86C9400 49000005
	ds_read_b32 v74, v5 offset:33568                           // 000000005950: D86C8320 4A000005
	ds_read_b32 v75, v5 offset:37920                           // 000000005958: D86C9420 4B000005
	ds_read_b32 v76, v5 offset:33600                           // 000000005960: D86C8340 4C000005
	ds_read_b32 v77, v5 offset:37952                           // 000000005968: D86C9440 4D000005
	ds_read_b32 v78, v5 offset:33632                           // 000000005970: D86C8360 4E000005
	ds_read_b32 v79, v5 offset:37984                           // 000000005978: D86C9460 4F000005
	s_waitcnt lgkmcnt(0)                                       // 000000005980: BF8CC07F
	s_setvskip s20, 0                                          // 000000005984: BF108014
	global_atomic_pk_add_bf16 v80, v64, s[8:9]                 // 000000005988: DD488000 00084050
	s_setvskip 0, 0                                            // 000000005990: BF108080
	s_setvskip s20, 0                                          // 000000005994: BF108014
	global_atomic_pk_add_bf16 v80, v65, s[8:9] offset:256      // 000000005998: DD488100 00084150
	s_setvskip 0, 0                                            // 0000000059A0: BF108080
	s_setvskip s20, 1                                          // 0000000059A4: BF108114
	global_atomic_pk_add_bf16 v82, v66, s[8:9]                 // 0000000059A8: DD488000 00084252
	s_setvskip 0, 0                                            // 0000000059B0: BF108080
	s_setvskip s20, 1                                          // 0000000059B4: BF108114
	global_atomic_pk_add_bf16 v82, v67, s[8:9] offset:256      // 0000000059B8: DD488100 00084352
	s_setvskip 0, 0                                            // 0000000059C0: BF108080
	s_setvskip s20, 2                                          // 0000000059C4: BF108214
	global_atomic_pk_add_bf16 v84, v68, s[8:9]                 // 0000000059C8: DD488000 00084454
	s_setvskip 0, 0                                            // 0000000059D0: BF108080
	s_setvskip s20, 2                                          // 0000000059D4: BF108214
	global_atomic_pk_add_bf16 v84, v69, s[8:9] offset:256      // 0000000059D8: DD488100 00084554
	s_setvskip 0, 0                                            // 0000000059E0: BF108080
	s_setvskip s20, 3                                          // 0000000059E4: BF108314
	global_atomic_pk_add_bf16 v86, v70, s[8:9]                 // 0000000059E8: DD488000 00084656
	s_setvskip 0, 0                                            // 0000000059F0: BF108080
	s_setvskip s20, 3                                          // 0000000059F4: BF108314
	global_atomic_pk_add_bf16 v86, v71, s[8:9] offset:256      // 0000000059F8: DD488100 00084756
	s_setvskip 0, 0                                            // 000000005A00: BF108080
	s_setvskip s20, 4                                          // 000000005A04: BF108414
	global_atomic_pk_add_bf16 v88, v72, s[8:9]                 // 000000005A08: DD488000 00084858
	s_setvskip 0, 0                                            // 000000005A10: BF108080
	s_setvskip s20, 4                                          // 000000005A14: BF108414
	global_atomic_pk_add_bf16 v88, v73, s[8:9] offset:256      // 000000005A18: DD488100 00084958
	s_setvskip 0, 0                                            // 000000005A20: BF108080
	s_setvskip s20, 5                                          // 000000005A24: BF108514
	global_atomic_pk_add_bf16 v90, v74, s[8:9]                 // 000000005A28: DD488000 00084A5A
	s_setvskip 0, 0                                            // 000000005A30: BF108080
	s_setvskip s20, 5                                          // 000000005A34: BF108514
	global_atomic_pk_add_bf16 v90, v75, s[8:9] offset:256      // 000000005A38: DD488100 00084B5A
	s_setvskip 0, 0                                            // 000000005A40: BF108080
	s_setvskip s20, 6                                          // 000000005A44: BF108614
	global_atomic_pk_add_bf16 v92, v76, s[8:9]                 // 000000005A48: DD488000 00084C5C
	s_setvskip 0, 0                                            // 000000005A50: BF108080
	s_setvskip s20, 6                                          // 000000005A54: BF108614
	global_atomic_pk_add_bf16 v92, v77, s[8:9] offset:256      // 000000005A58: DD488100 00084D5C
	s_setvskip 0, 0                                            // 000000005A60: BF108080
	s_setvskip s20, 7                                          // 000000005A64: BF108714
	global_atomic_pk_add_bf16 v94, v78, s[8:9]                 // 000000005A68: DD488000 00084E5E
	s_setvskip 0, 0                                            // 000000005A70: BF108080
	s_setvskip s20, 7                                          // 000000005A74: BF108714
	global_atomic_pk_add_bf16 v94, v79, s[8:9] offset:256      // 000000005A78: DD488100 00084F5E
	s_setvskip 0, 0                                            // 000000005A80: BF108080
	s_add_u32 s8, s59, s8                                      // 000000005A84: 8008083B
	s_addc_u32 s9, 0, s9                                       // 000000005A88: 82090980
	s_addk_i32 s80, 0x100                                      // 000000005A8C: B7500100
	s_cmp_lt_i32 s80, s81                                      // 000000005A90: BF045150
	s_cbranch_scc0 label_0B27                                  // 000000005A94: BF840001
	s_branch label_0714                                        // 000000005A98: BF82FBED

0000000000005a9c <label_0B27>:
	s_nop 0                                                    // 000000005A9C: BF800000
	s_nop 0                                                    // 000000005AA0: BF800000
	s_branch label_13B0                                        // 000000005AA4: BF820886

0000000000005aa8 <label_0B2A>:
	s_waitcnt vmcnt(0) lgkmcnt(0)                              // 000000005AA8: BF8C0070
	s_barrier                                                  // 000000005AAC: BF8A0000
	v_mfma_f32_16x16x32_fp8_fp8 v[144:147], a[0:1], v[192:193], 0// 000000005AB0: D3F30090 0A038100
	buffer_load_dwordx4 a[32:35], v40, s[92:95], 0 offen       // 000000005AB8: E05C1000 80972028
	buffer_load_dword v32, s[20:23], 0 offen lds               // 000000005AC0: E0511000 80050020
	s_add_u32 m0, 0x100, s51                                   // 000000005AC8: 807C33FF 00000100
	buffer_load_dword v33, s[20:23], 0 offen lds               // 000000005AD0: E0511000 80050021
	s_add_u32 m0, 0x200, s51                                   // 000000005AD8: 807C33FF 00000200
	v_mfma_f32_16x16x32_fp8_fp8 v[144:147], a[2:3], v[194:195], v[144:147]// 000000005AE0: D3F30090 0E438502
	v_mfma_f32_16x16x32_fp8_fp8 v[144:147], a[4:5], v[196:197], v[144:147]// 000000005AE8: D3F30090 0E438904
	buffer_load_dword v34, s[20:23], 0 offen lds               // 000000005AF0: E0511000 80050022
	s_add_u32 m0, 0x300, s51                                   // 000000005AF8: 807C33FF 00000300
	buffer_load_dword v35, s[20:23], 0 offen lds               // 000000005B00: E0511000 80050023
	s_add_u32 m0, 0x400, s51                                   // 000000005B08: 807C33FF 00000400
	v_mfma_f32_16x16x32_fp8_fp8 v[144:147], a[6:7], v[198:199], v[144:147]// 000000005B10: D3F30090 0E438D06
	v_mfma_f32_16x16x32_fp8_fp8 v[148:151], a[0:1], v[208:209], 0// 000000005B18: D3F30094 0A03A100
	buffer_load_dwordx4 a[36:39], v40, s[92:95], 0 offen offset:1024// 000000005B20: E05C1400 80972428
	buffer_load_dword v36, s[20:23], 0 offen lds               // 000000005B28: E0511000 80050024
	s_add_u32 m0, 0x500, s51                                   // 000000005B30: 807C33FF 00000500
	buffer_load_dword v37, s[20:23], 0 offen lds               // 000000005B38: E0511000 80050025
	s_add_u32 m0, 0x600, s51                                   // 000000005B40: 807C33FF 00000600
	v_mfma_f32_16x16x32_fp8_fp8 v[148:151], a[2:3], v[210:211], v[148:151]// 000000005B48: D3F30094 0E53A502
	v_mfma_f32_16x16x32_fp8_fp8 v[148:151], a[4:5], v[212:213], v[148:151]// 000000005B50: D3F30094 0E53A904
	buffer_load_dword v38, s[20:23], 0 offen lds               // 000000005B58: E0511000 80050026
	s_add_u32 m0, 0x700, s51                                   // 000000005B60: 807C33FF 00000700
	buffer_load_dword v39, s[20:23], 0 offen lds               // 000000005B68: E0511000 80050027
	s_add_u32 m0, s51, s76                                     // 000000005B70: 807C4C33
	v_mfma_f32_16x16x32_fp8_fp8 v[148:151], a[6:7], v[214:215], v[148:151]// 000000005B74: D3F30094 0E53AD06
	v_mfma_f32_16x16x32_fp8_fp8 v[152:155], a[16:17], v[192:193], 0// 000000005B7C: D3F30098 0A038110
	buffer_load_dwordx4 a[48:51], v41, s[92:95], 0 offen       // 000000005B84: E05C1000 80973029
	v_mfma_f32_16x16x32_fp8_fp8 v[152:155], a[18:19], v[194:195], v[152:155]// 000000005B8C: D3F30098 0E638512
	v_mfma_f32_16x16x32_fp8_fp8 v[152:155], a[20:21], v[196:197], v[152:155]// 000000005B94: D3F30098 0E638914
	v_mfma_f32_16x16x32_fp8_fp8 v[152:155], a[22:23], v[198:199], v[152:155]// 000000005B9C: D3F30098 0E638D16
	v_mfma_f32_16x16x32_fp8_fp8 v[156:159], a[16:17], v[208:209], 0// 000000005BA4: D3F3009C 0A03A110
	buffer_load_dwordx4 a[52:55], v41, s[92:95], 0 offen offset:1024// 000000005BAC: E05C1400 80973429
	v_mfma_f32_16x16x32_fp8_fp8 v[156:159], a[18:19], v[210:211], v[156:159]// 000000005BB4: D3F3009C 0E73A512
	v_mfma_f32_16x16x32_fp8_fp8 v[156:159], a[20:21], v[212:213], v[156:159]// 000000005BBC: D3F3009C 0E73A914
	v_mfma_f32_16x16x32_fp8_fp8 v[156:159], a[22:23], v[214:215], v[156:159]// 000000005BC4: D3F3009C 0E73AD16
	buffer_load_dword v7, s[28:31], 0 offen lds                // 000000005BCC: E0511000 80070007
	s_add_u32 m0, 0, s50                                       // 000000005BD4: 807C3280
	buffer_load_dword v24, v13, s[32:35], 0 offen              // 000000005BD8: E0501000 8008180D
	v_mul_f32_dpp v50, v23, v15 row_newbcast:0 row_mask:0xf bank_mask:0xf// 000000005BE0: 0A641EFA FF015017
	v_mov_b32_e32 v51, v50                                     // 000000005BE8: 7E660332
	v_pk_fma_f32 v[128:129], v[144:145], v[50:51], v[128:129]  // 000000005BEC: D3B04080 1E026590
	v_pk_fma_f32 v[130:131], v[146:147], v[50:51], v[130:131]  // 000000005BF4: D3B04082 1E0A6592
	v_pk_fma_f32 v[136:137], v[152:153], v[50:51], v[136:137]  // 000000005BFC: D3B04088 1E226598
	v_pk_fma_f32 v[138:139], v[154:155], v[50:51], v[138:139]  // 000000005C04: D3B0408A 1E2A659A
	v_mul_f32_dpp v50, v23, v16 row_newbcast:0 row_mask:0xf bank_mask:0xf// 000000005C0C: 0A6420FA FF015017
	v_mov_b32_e32 v51, v50                                     // 000000005C14: 7E660332
	v_pk_fma_f32 v[132:133], v[148:149], v[50:51], v[132:133]  // 000000005C18: D3B04084 1E126594
	v_pk_fma_f32 v[134:135], v[150:151], v[50:51], v[134:135]  // 000000005C20: D3B04086 1E1A6596
	v_pk_fma_f32 v[140:141], v[156:157], v[50:51], v[140:141]  // 000000005C28: D3B0408C 1E32659C
	v_pk_fma_f32 v[142:143], v[158:159], v[50:51], v[142:143]  // 000000005C30: D3B0408E 1E3A659E
	v_mfma_f32_16x16x32_fp8_fp8 v[144:147], a[8:9], v[200:201], 0// 000000005C38: D3F30090 0A039108
	buffer_load_dwordx4 a[40:43], v40, s[92:95], 0 offen offset:2048// 000000005C40: E05C1800 80972828
	v_mfma_f32_16x16x32_fp8_fp8 v[144:147], a[10:11], v[202:203], v[144:147]// 000000005C48: D3F30090 0E43950A
	v_mfma_f32_16x16x32_fp8_fp8 v[144:147], a[12:13], v[204:205], v[144:147]// 000000005C50: D3F30090 0E43990C
	v_mfma_f32_16x16x32_fp8_fp8 v[144:147], a[14:15], v[206:207], v[144:147]// 000000005C58: D3F30090 0E439D0E
	v_mfma_f32_16x16x32_fp8_fp8 v[148:151], a[8:9], v[216:217], 0// 000000005C60: D3F30094 0A03B108
	buffer_load_dwordx4 a[44:47], v40, s[92:95], 0 offen offset:3072// 000000005C68: E05C1C00 80972C28
	v_mfma_f32_16x16x32_fp8_fp8 v[148:151], a[10:11], v[218:219], v[148:151]// 000000005C70: D3F30094 0E53B50A
	v_mfma_f32_16x16x32_fp8_fp8 v[148:151], a[12:13], v[220:221], v[148:151]// 000000005C78: D3F30094 0E53B90C
	v_mfma_f32_16x16x32_fp8_fp8 v[148:151], a[14:15], v[222:223], v[148:151]// 000000005C80: D3F30094 0E53BD0E
	v_mfma_f32_16x16x32_fp8_fp8 v[152:155], a[24:25], v[200:201], 0// 000000005C88: D3F30098 0A039118
	buffer_load_dwordx4 a[56:59], v41, s[92:95], 0 offen offset:2048// 000000005C90: E05C1800 80973829
	v_mfma_f32_16x16x32_fp8_fp8 v[152:155], a[26:27], v[202:203], v[152:155]// 000000005C98: D3F30098 0E63951A
	v_mfma_f32_16x16x32_fp8_fp8 v[152:155], a[28:29], v[204:205], v[152:155]// 000000005CA0: D3F30098 0E63991C
	v_mfma_f32_16x16x32_fp8_fp8 v[152:155], a[30:31], v[206:207], v[152:155]// 000000005CA8: D3F30098 0E639D1E
	v_mfma_f32_16x16x32_fp8_fp8 v[156:159], a[24:25], v[216:217], 0// 000000005CB0: D3F3009C 0A03B118
	buffer_load_dwordx4 a[60:63], v41, s[92:95], 0 offen offset:3072// 000000005CB8: E05C1C00 80973C29
	v_mfma_f32_16x16x32_fp8_fp8 v[156:159], a[26:27], v[218:219], v[156:159]// 000000005CC0: D3F3009C 0E73B51A
	v_mfma_f32_16x16x32_fp8_fp8 v[156:159], a[28:29], v[220:221], v[156:159]// 000000005CC8: D3F3009C 0E73B91C
	v_mfma_f32_16x16x32_fp8_fp8 v[156:159], a[30:31], v[222:223], v[156:159]// 000000005CD0: D3F3009C 0E73BD1E
	v_mul_f32_dpp v50, v23, v17 row_newbcast:2 row_mask:0xf bank_mask:0xf// 000000005CD8: 0A6422FA FF015217
	v_mov_b32_e32 v51, v50                                     // 000000005CE0: 7E660332
	v_pk_fma_f32 v[128:129], v[144:145], v[50:51], v[128:129]  // 000000005CE4: D3B04080 1E026590
	v_pk_fma_f32 v[130:131], v[146:147], v[50:51], v[130:131]  // 000000005CEC: D3B04082 1E0A6592
	v_pk_fma_f32 v[136:137], v[152:153], v[50:51], v[136:137]  // 000000005CF4: D3B04088 1E226598
	v_pk_fma_f32 v[138:139], v[154:155], v[50:51], v[138:139]  // 000000005CFC: D3B0408A 1E2A659A
	v_mul_f32_dpp v50, v23, v18 row_newbcast:2 row_mask:0xf bank_mask:0xf// 000000005D04: 0A6424FA FF015217
	v_mov_b32_e32 v51, v50                                     // 000000005D0C: 7E660332
	v_pk_fma_f32 v[132:133], v[148:149], v[50:51], v[132:133]  // 000000005D10: D3B04084 1E126594
	v_pk_fma_f32 v[134:135], v[150:151], v[50:51], v[134:135]  // 000000005D18: D3B04086 1E1A6596
	v_pk_fma_f32 v[140:141], v[156:157], v[50:51], v[140:141]  // 000000005D20: D3B0408C 1E32659C
	v_pk_fma_f32 v[142:143], v[158:159], v[50:51], v[142:143]  // 000000005D28: D3B0408E 1E3A659E
	s_add_u32 s60, 0x100, s80                                  // 000000005D30: 803C50FF 00000100
	s_cmp_lt_u32 s60, s81                                      // 000000005D38: BF0A513C
	s_cselect_b32 s4, s4, 0                                    // 000000005D3C: 85048004
	s_add_u32 s32, s4, s32                                     // 000000005D40: 80202004
	s_addc_u32 s33, 0, s33                                     // 000000005D44: 82212180
	s_waitcnt vmcnt(0)                                         // 000000005D48: BF8C0F70
	s_barrier                                                  // 000000005D4C: BF8A0000
	v_mfma_f32_16x16x32_fp8_fp8 v[80:83], a[32:33], v[192:193], 0// 000000005D50: D3F30050 0A038120
	buffer_load_dwordx4 a[0:3], v40, s[24:27], 0 offen         // 000000005D58: E05C1000 80860028
	v_mfma_f32_16x16x32_fp8_fp8 v[80:83], a[34:35], v[194:195], v[80:83]// 000000005D60: D3F30050 0D438522
	v_mfma_f32_16x16x32_fp8_fp8 v[80:83], a[36:37], v[196:197], v[80:83]// 000000005D68: D3F30050 0D438924
	buffer_load_dword v23, v11, s[32:35], 0 offen              // 000000005D70: E0501000 8008170B
	ds_read_b128 v[224:227], v2 offset:9344                    // 000000005D78: D9FE2480 E0000002
	ds_read_b32 v19, v3 offset:17664                           // 000000005D80: D86C4500 13000003
	v_mfma_f32_16x16x32_fp8_fp8 v[80:83], a[38:39], v[198:199], v[80:83]// 000000005D88: D3F30050 0D438D26
	v_mfma_f32_16x16x32_fp8_fp8 v[84:87], a[32:33], v[208:209], 0// 000000005D90: D3F30054 0A03A120
	buffer_load_dwordx4 a[4:7], v40, s[24:27], 0 offen offset:1024// 000000005D98: E05C1400 80860428
	v_mfma_f32_16x16x32_fp8_fp8 v[84:87], a[34:35], v[210:211], v[84:87]// 000000005DA0: D3F30054 0D53A522
	v_mfma_f32_16x16x32_fp8_fp8 v[84:87], a[36:37], v[212:213], v[84:87]// 000000005DA8: D3F30054 0D53A924
	ds_read_b128 v[228:231], v2 offset:9408                    // 000000005DB0: D9FE24C0 E4000002
	ds_read_b32 v20, v3 offset:17920                           // 000000005DB8: D86C4600 14000003
	v_mfma_f32_16x16x32_fp8_fp8 v[84:87], a[38:39], v[214:215], v[84:87]// 000000005DC0: D3F30054 0D53AD26
	v_mfma_f32_16x16x32_fp8_fp8 v[88:91], a[48:49], v[192:193], 0// 000000005DC8: D3F30058 0A038130
	buffer_load_dwordx4 a[16:19], v41, s[24:27], 0 offen       // 000000005DD0: E05C1000 80861029
	v_mfma_f32_16x16x32_fp8_fp8 v[88:91], a[50:51], v[194:195], v[88:91]// 000000005DD8: D3F30058 0D638532
	v_mfma_f32_16x16x32_fp8_fp8 v[88:91], a[52:53], v[196:197], v[88:91]// 000000005DE0: D3F30058 0D638934
	ds_read_b128 v[232:235], v2 offset:9472                    // 000000005DE8: D9FE2500 E8000002
	ds_read_b32 v21, v3 offset:18176                           // 000000005DF0: D86C4700 15000003
	v_mfma_f32_16x16x32_fp8_fp8 v[88:91], a[54:55], v[198:199], v[88:91]// 000000005DF8: D3F30058 0D638D36
	v_mfma_f32_16x16x32_fp8_fp8 v[92:95], a[48:49], v[208:209], 0// 000000005E00: D3F3005C 0A03A130
	buffer_load_dwordx4 a[20:23], v41, s[24:27], 0 offen offset:1024// 000000005E08: E05C1400 80861429
	v_mfma_f32_16x16x32_fp8_fp8 v[92:95], a[50:51], v[210:211], v[92:95]// 000000005E10: D3F3005C 0D73A532
	v_mfma_f32_16x16x32_fp8_fp8 v[92:95], a[52:53], v[212:213], v[92:95]// 000000005E18: D3F3005C 0D73A934
	ds_read_b128 v[236:239], v2 offset:9536                    // 000000005E20: D9FE2540 EC000002
	ds_read_b32 v22, v3 offset:18432                           // 000000005E28: D86C4800 16000003
	v_mfma_f32_16x16x32_fp8_fp8 v[92:95], a[54:55], v[214:215], v[92:95]// 000000005E30: D3F3005C 0D73AD36
	v_mul_f32_dpp v50, v24, v15 row_newbcast:0 row_mask:0xf bank_mask:0xf// 000000005E38: 0A641EFA FF015018
	v_mov_b32_e32 v51, v50                                     // 000000005E40: 7E660332
	v_pk_fma_f32 v[64:65], v[80:81], v[50:51], v[64:65]        // 000000005E44: D3B04040 1D026550
	v_pk_fma_f32 v[66:67], v[82:83], v[50:51], v[66:67]        // 000000005E4C: D3B04042 1D0A6552
	v_pk_fma_f32 v[72:73], v[88:89], v[50:51], v[72:73]        // 000000005E54: D3B04048 1D226558
	v_pk_fma_f32 v[74:75], v[90:91], v[50:51], v[74:75]        // 000000005E5C: D3B0404A 1D2A655A
	v_mul_f32_dpp v50, v24, v16 row_newbcast:0 row_mask:0xf bank_mask:0xf// 000000005E64: 0A6420FA FF015018
	v_mov_b32_e32 v51, v50                                     // 000000005E6C: 7E660332
	v_pk_fma_f32 v[68:69], v[84:85], v[50:51], v[68:69]        // 000000005E70: D3B04044 1D126554
	v_pk_fma_f32 v[70:71], v[86:87], v[50:51], v[70:71]        // 000000005E78: D3B04046 1D1A6556
	v_pk_fma_f32 v[76:77], v[92:93], v[50:51], v[76:77]        // 000000005E80: D3B0404C 1D32655C
	v_pk_fma_f32 v[78:79], v[94:95], v[50:51], v[78:79]        // 000000005E88: D3B0404E 1D3A655E
	v_mfma_f32_16x16x32_fp8_fp8 v[80:83], a[40:41], v[200:201], 0// 000000005E90: D3F30050 0A039128
	buffer_load_dwordx4 a[8:11], v40, s[24:27], 0 offen offset:2048// 000000005E98: E05C1800 80860828
	v_mfma_f32_16x16x32_fp8_fp8 v[80:83], a[42:43], v[202:203], v[80:83]// 000000005EA0: D3F30050 0D43952A
	v_mfma_f32_16x16x32_fp8_fp8 v[80:83], a[44:45], v[204:205], v[80:83]// 000000005EA8: D3F30050 0D43992C
	ds_read_b128 v[240:243], v2 offset:10368                   // 000000005EB0: D9FE2880 F0000002
	v_mfma_f32_16x16x32_fp8_fp8 v[80:83], a[46:47], v[206:207], v[80:83]// 000000005EB8: D3F30050 0D439D2E
	v_mfma_f32_16x16x32_fp8_fp8 v[84:87], a[40:41], v[216:217], 0// 000000005EC0: D3F30054 0A03B128
	buffer_load_dwordx4 a[12:15], v40, s[24:27], 0 offen offset:3072// 000000005EC8: E05C1C00 80860C28
	v_mfma_f32_16x16x32_fp8_fp8 v[84:87], a[42:43], v[218:219], v[84:87]// 000000005ED0: D3F30054 0D53B52A
	v_mfma_f32_16x16x32_fp8_fp8 v[84:87], a[44:45], v[220:221], v[84:87]// 000000005ED8: D3F30054 0D53B92C
	ds_read_b128 v[244:247], v2 offset:10432                   // 000000005EE0: D9FE28C0 F4000002
	v_mfma_f32_16x16x32_fp8_fp8 v[84:87], a[46:47], v[222:223], v[84:87]// 000000005EE8: D3F30054 0D53BD2E
	v_mfma_f32_16x16x32_fp8_fp8 v[88:91], a[56:57], v[200:201], 0// 000000005EF0: D3F30058 0A039138
	buffer_load_dwordx4 a[24:27], v41, s[24:27], 0 offen offset:2048// 000000005EF8: E05C1800 80861829
	v_mfma_f32_16x16x32_fp8_fp8 v[88:91], a[58:59], v[202:203], v[88:91]// 000000005F00: D3F30058 0D63953A
	v_mfma_f32_16x16x32_fp8_fp8 v[88:91], a[60:61], v[204:205], v[88:91]// 000000005F08: D3F30058 0D63993C
	ds_read_b128 v[248:251], v2 offset:10496                   // 000000005F10: D9FE2900 F8000002
	v_mfma_f32_16x16x32_fp8_fp8 v[88:91], a[62:63], v[206:207], v[88:91]// 000000005F18: D3F30058 0D639D3E
	v_mfma_f32_16x16x32_fp8_fp8 v[92:95], a[56:57], v[216:217], 0// 000000005F20: D3F3005C 0A03B138
	buffer_load_dwordx4 a[28:31], v41, s[24:27], 0 offen offset:3072// 000000005F28: E05C1C00 80861C29
	v_mfma_f32_16x16x32_fp8_fp8 v[92:95], a[58:59], v[218:219], v[92:95]// 000000005F30: D3F3005C 0D73B53A
	v_mfma_f32_16x16x32_fp8_fp8 v[92:95], a[60:61], v[220:221], v[92:95]// 000000005F38: D3F3005C 0D73B93C
	ds_read_b128 v[252:255], v2 offset:10560                   // 000000005F40: D9FE2940 FC000002
	v_mfma_f32_16x16x32_fp8_fp8 v[92:95], a[62:63], v[222:223], v[92:95]// 000000005F48: D3F3005C 0D73BD3E
	v_mul_f32_dpp v50, v24, v17 row_newbcast:2 row_mask:0xf bank_mask:0xf// 000000005F50: 0A6422FA FF015218
	v_mov_b32_e32 v51, v50                                     // 000000005F58: 7E660332
	v_pk_fma_f32 v[64:65], v[80:81], v[50:51], v[64:65]        // 000000005F5C: D3B04040 1D026550
	v_pk_fma_f32 v[66:67], v[82:83], v[50:51], v[66:67]        // 000000005F64: D3B04042 1D0A6552
	v_pk_fma_f32 v[72:73], v[88:89], v[50:51], v[72:73]        // 000000005F6C: D3B04048 1D226558
	v_pk_fma_f32 v[74:75], v[90:91], v[50:51], v[74:75]        // 000000005F74: D3B0404A 1D2A655A
	v_mul_f32_dpp v50, v24, v18 row_newbcast:2 row_mask:0xf bank_mask:0xf// 000000005F7C: 0A6424FA FF015218
	v_mov_b32_e32 v51, v50                                     // 000000005F84: 7E660332
	v_pk_fma_f32 v[68:69], v[84:85], v[50:51], v[68:69]        // 000000005F88: D3B04044 1D126554
	v_pk_fma_f32 v[70:71], v[86:87], v[50:51], v[70:71]        // 000000005F90: D3B04046 1D1A6556
	v_pk_fma_f32 v[76:77], v[92:93], v[50:51], v[76:77]        // 000000005F98: D3B0404C 1D32655C
	v_pk_fma_f32 v[78:79], v[94:95], v[50:51], v[78:79]        // 000000005FA0: D3B0404E 1D3A655E
	s_add_u32 s60, 0x200, s80                                  // 000000005FA8: 803C50FF 00000200
	s_cmp_lt_u32 s60, s81                                      // 000000005FB0: BF0A513C
	s_cselect_b32 s57, s57, 0                                  // 000000005FB4: 85398039
	s_cselect_b32 s3, s3, 0                                    // 000000005FB8: 85038003
	s_add_u32 s60, 0x200, s80                                  // 000000005FBC: 803C50FF 00000200
	s_cmp_lt_u32 s60, s81                                      // 000000005FC4: BF0A513C
	s_cselect_b32 s58, s58, 0                                  // 000000005FC8: 853A803A
	s_add_u32 s20, s57, s20                                    // 000000005FCC: 80141439
	s_addc_u32 s21, 0, s21                                     // 000000005FD0: 82151580
	s_add_u32 s28, s3, s28                                     // 000000005FD4: 801C1C03
	s_addc_u32 s29, 0, s29                                     // 000000005FD8: 821D1D80
	s_add_u32 s24, s58, s24                                    // 000000005FDC: 8018183A
	s_addc_u32 s25, 0, s25                                     // 000000005FE0: 82191980
	s_add_u32 s92, s90, s92                                    // 000000005FE4: 805C5C5A
	s_addc_u32 s93, 0, s93                                     // 000000005FE8: 825D5D80
	s_addk_i32 s80, 0x100                                      // 000000005FEC: B7500100
	s_cmp_lt_i32 s80, s81                                      // 000000005FF0: BF045150
	s_cbranch_scc0 label_0DD3                                  // 000000005FF4: BF840155
	s_waitcnt vmcnt(0) lgkmcnt(0)                              // 000000005FF8: BF8C0070
	s_barrier                                                  // 000000005FFC: BF8A0000
	v_mfma_f32_16x16x32_fp8_fp8 v[144:147], a[0:1], v[224:225], 0// 000000006000: D3F30090 0A03C100
	buffer_load_dwordx4 a[32:35], v40, s[92:95], 0 offen       // 000000006008: E05C1000 80972028
	buffer_load_dword v32, s[20:23], 0 offen lds               // 000000006010: E0511000 80050020
	s_add_u32 m0, 0x100, s50                                   // 000000006018: 807C32FF 00000100
	buffer_load_dword v33, s[20:23], 0 offen lds               // 000000006020: E0511000 80050021
	s_add_u32 m0, 0x200, s50                                   // 000000006028: 807C32FF 00000200
	v_mfma_f32_16x16x32_fp8_fp8 v[144:147], a[2:3], v[226:227], v[144:147]// 000000006030: D3F30090 0E43C502
	v_mfma_f32_16x16x32_fp8_fp8 v[144:147], a[4:5], v[228:229], v[144:147]// 000000006038: D3F30090 0E43C904
	buffer_load_dword v34, s[20:23], 0 offen lds               // 000000006040: E0511000 80050022
	s_add_u32 m0, 0x300, s50                                   // 000000006048: 807C32FF 00000300
	buffer_load_dword v35, s[20:23], 0 offen lds               // 000000006050: E0511000 80050023
	s_add_u32 m0, 0x400, s50                                   // 000000006058: 807C32FF 00000400
	v_mfma_f32_16x16x32_fp8_fp8 v[144:147], a[6:7], v[230:231], v[144:147]// 000000006060: D3F30090 0E43CD06
	v_mfma_f32_16x16x32_fp8_fp8 v[148:151], a[0:1], v[240:241], 0// 000000006068: D3F30094 0A03E100
	buffer_load_dwordx4 a[36:39], v40, s[92:95], 0 offen offset:1024// 000000006070: E05C1400 80972428
	buffer_load_dword v36, s[20:23], 0 offen lds               // 000000006078: E0511000 80050024
	s_add_u32 m0, 0x500, s50                                   // 000000006080: 807C32FF 00000500
	buffer_load_dword v37, s[20:23], 0 offen lds               // 000000006088: E0511000 80050025
	s_add_u32 m0, 0x600, s50                                   // 000000006090: 807C32FF 00000600
	v_mfma_f32_16x16x32_fp8_fp8 v[148:151], a[2:3], v[242:243], v[148:151]// 000000006098: D3F30094 0E53E502
	v_mfma_f32_16x16x32_fp8_fp8 v[148:151], a[4:5], v[244:245], v[148:151]// 0000000060A0: D3F30094 0E53E904
	buffer_load_dword v38, s[20:23], 0 offen lds               // 0000000060A8: E0511000 80050026
	s_add_u32 m0, 0x700, s50                                   // 0000000060B0: 807C32FF 00000700
	buffer_load_dword v39, s[20:23], 0 offen lds               // 0000000060B8: E0511000 80050027
	s_add_u32 m0, s50, s76                                     // 0000000060C0: 807C4C32
	v_mfma_f32_16x16x32_fp8_fp8 v[148:151], a[6:7], v[246:247], v[148:151]// 0000000060C4: D3F30094 0E53ED06
	v_mfma_f32_16x16x32_fp8_fp8 v[152:155], a[16:17], v[224:225], 0// 0000000060CC: D3F30098 0A03C110
	buffer_load_dwordx4 a[48:51], v41, s[92:95], 0 offen       // 0000000060D4: E05C1000 80973029
	v_mfma_f32_16x16x32_fp8_fp8 v[152:155], a[18:19], v[226:227], v[152:155]// 0000000060DC: D3F30098 0E63C512
	v_mfma_f32_16x16x32_fp8_fp8 v[152:155], a[20:21], v[228:229], v[152:155]// 0000000060E4: D3F30098 0E63C914
	v_mfma_f32_16x16x32_fp8_fp8 v[152:155], a[22:23], v[230:231], v[152:155]// 0000000060EC: D3F30098 0E63CD16
	v_mfma_f32_16x16x32_fp8_fp8 v[156:159], a[16:17], v[240:241], 0// 0000000060F4: D3F3009C 0A03E110
	buffer_load_dwordx4 a[52:55], v41, s[92:95], 0 offen offset:1024// 0000000060FC: E05C1400 80973429
	v_mfma_f32_16x16x32_fp8_fp8 v[156:159], a[18:19], v[242:243], v[156:159]// 000000006104: D3F3009C 0E73E512
	v_mfma_f32_16x16x32_fp8_fp8 v[156:159], a[20:21], v[244:245], v[156:159]// 00000000610C: D3F3009C 0E73E914
	v_mfma_f32_16x16x32_fp8_fp8 v[156:159], a[22:23], v[246:247], v[156:159]// 000000006114: D3F3009C 0E73ED16
	buffer_load_dword v7, s[28:31], 0 offen lds                // 00000000611C: E0511000 80070007
	s_add_u32 m0, 0, s51                                       // 000000006124: 807C3380
	buffer_load_dword v24, v13, s[32:35], 0 offen              // 000000006128: E0501000 8008180D
	v_mul_f32_dpp v50, v23, v19 row_newbcast:0 row_mask:0xf bank_mask:0xf// 000000006130: 0A6426FA FF015017
	v_mov_b32_e32 v51, v50                                     // 000000006138: 7E660332
	v_pk_fma_f32 v[128:129], v[144:145], v[50:51], v[128:129]  // 00000000613C: D3B04080 1E026590
	v_pk_fma_f32 v[130:131], v[146:147], v[50:51], v[130:131]  // 000000006144: D3B04082 1E0A6592
	v_pk_fma_f32 v[136:137], v[152:153], v[50:51], v[136:137]  // 00000000614C: D3B04088 1E226598
	v_pk_fma_f32 v[138:139], v[154:155], v[50:51], v[138:139]  // 000000006154: D3B0408A 1E2A659A
	v_mul_f32_dpp v50, v23, v20 row_newbcast:0 row_mask:0xf bank_mask:0xf// 00000000615C: 0A6428FA FF015017
	v_mov_b32_e32 v51, v50                                     // 000000006164: 7E660332
	v_pk_fma_f32 v[132:133], v[148:149], v[50:51], v[132:133]  // 000000006168: D3B04084 1E126594
	v_pk_fma_f32 v[134:135], v[150:151], v[50:51], v[134:135]  // 000000006170: D3B04086 1E1A6596
	v_pk_fma_f32 v[140:141], v[156:157], v[50:51], v[140:141]  // 000000006178: D3B0408C 1E32659C
	v_pk_fma_f32 v[142:143], v[158:159], v[50:51], v[142:143]  // 000000006180: D3B0408E 1E3A659E
	v_mfma_f32_16x16x32_fp8_fp8 v[144:147], a[8:9], v[232:233], 0// 000000006188: D3F30090 0A03D108
	buffer_load_dwordx4 a[40:43], v40, s[92:95], 0 offen offset:2048// 000000006190: E05C1800 80972828
	v_mfma_f32_16x16x32_fp8_fp8 v[144:147], a[10:11], v[234:235], v[144:147]// 000000006198: D3F30090 0E43D50A
	v_mfma_f32_16x16x32_fp8_fp8 v[144:147], a[12:13], v[236:237], v[144:147]// 0000000061A0: D3F30090 0E43D90C
	v_mfma_f32_16x16x32_fp8_fp8 v[144:147], a[14:15], v[238:239], v[144:147]// 0000000061A8: D3F30090 0E43DD0E
	v_mfma_f32_16x16x32_fp8_fp8 v[148:151], a[8:9], v[248:249], 0// 0000000061B0: D3F30094 0A03F108
	buffer_load_dwordx4 a[44:47], v40, s[92:95], 0 offen offset:3072// 0000000061B8: E05C1C00 80972C28
	v_mfma_f32_16x16x32_fp8_fp8 v[148:151], a[10:11], v[250:251], v[148:151]// 0000000061C0: D3F30094 0E53F50A
	v_mfma_f32_16x16x32_fp8_fp8 v[148:151], a[12:13], v[252:253], v[148:151]// 0000000061C8: D3F30094 0E53F90C
	v_mfma_f32_16x16x32_fp8_fp8 v[148:151], a[14:15], v[254:255], v[148:151]// 0000000061D0: D3F30094 0E53FD0E
	v_mfma_f32_16x16x32_fp8_fp8 v[152:155], a[24:25], v[232:233], 0// 0000000061D8: D3F30098 0A03D118
	buffer_load_dwordx4 a[56:59], v41, s[92:95], 0 offen offset:2048// 0000000061E0: E05C1800 80973829
	v_mfma_f32_16x16x32_fp8_fp8 v[152:155], a[26:27], v[234:235], v[152:155]// 0000000061E8: D3F30098 0E63D51A
	v_mfma_f32_16x16x32_fp8_fp8 v[152:155], a[28:29], v[236:237], v[152:155]// 0000000061F0: D3F30098 0E63D91C
	v_mfma_f32_16x16x32_fp8_fp8 v[152:155], a[30:31], v[238:239], v[152:155]// 0000000061F8: D3F30098 0E63DD1E
	v_mfma_f32_16x16x32_fp8_fp8 v[156:159], a[24:25], v[248:249], 0// 000000006200: D3F3009C 0A03F118
	buffer_load_dwordx4 a[60:63], v41, s[92:95], 0 offen offset:3072// 000000006208: E05C1C00 80973C29
	v_mfma_f32_16x16x32_fp8_fp8 v[156:159], a[26:27], v[250:251], v[156:159]// 000000006210: D3F3009C 0E73F51A
	v_mfma_f32_16x16x32_fp8_fp8 v[156:159], a[28:29], v[252:253], v[156:159]// 000000006218: D3F3009C 0E73F91C
	v_mfma_f32_16x16x32_fp8_fp8 v[156:159], a[30:31], v[254:255], v[156:159]// 000000006220: D3F3009C 0E73FD1E
	v_mul_f32_dpp v50, v23, v21 row_newbcast:2 row_mask:0xf bank_mask:0xf// 000000006228: 0A642AFA FF015217
	v_mov_b32_e32 v51, v50                                     // 000000006230: 7E660332
	v_pk_fma_f32 v[128:129], v[144:145], v[50:51], v[128:129]  // 000000006234: D3B04080 1E026590
	v_pk_fma_f32 v[130:131], v[146:147], v[50:51], v[130:131]  // 00000000623C: D3B04082 1E0A6592
	v_pk_fma_f32 v[136:137], v[152:153], v[50:51], v[136:137]  // 000000006244: D3B04088 1E226598
	v_pk_fma_f32 v[138:139], v[154:155], v[50:51], v[138:139]  // 00000000624C: D3B0408A 1E2A659A
	v_mul_f32_dpp v50, v23, v22 row_newbcast:2 row_mask:0xf bank_mask:0xf// 000000006254: 0A642CFA FF015217
	v_mov_b32_e32 v51, v50                                     // 00000000625C: 7E660332
	v_pk_fma_f32 v[132:133], v[148:149], v[50:51], v[132:133]  // 000000006260: D3B04084 1E126594
	v_pk_fma_f32 v[134:135], v[150:151], v[50:51], v[134:135]  // 000000006268: D3B04086 1E1A6596
	v_pk_fma_f32 v[140:141], v[156:157], v[50:51], v[140:141]  // 000000006270: D3B0408C 1E32659C
	v_pk_fma_f32 v[142:143], v[158:159], v[50:51], v[142:143]  // 000000006278: D3B0408E 1E3A659E
	s_add_u32 s60, 0x100, s80                                  // 000000006280: 803C50FF 00000100
	s_cmp_lt_u32 s60, s81                                      // 000000006288: BF0A513C
	s_cselect_b32 s4, s4, 0                                    // 00000000628C: 85048004
	s_add_u32 s32, s4, s32                                     // 000000006290: 80202004
	s_addc_u32 s33, 0, s33                                     // 000000006294: 82212180
	s_waitcnt vmcnt(0)                                         // 000000006298: BF8C0F70
	s_barrier                                                  // 00000000629C: BF8A0000
	v_mfma_f32_16x16x32_fp8_fp8 v[80:83], a[32:33], v[224:225], 0// 0000000062A0: D3F30050 0A03C120
	buffer_load_dwordx4 a[0:3], v40, s[24:27], 0 offen         // 0000000062A8: E05C1000 80860028
	v_mfma_f32_16x16x32_fp8_fp8 v[80:83], a[34:35], v[226:227], v[80:83]// 0000000062B0: D3F30050 0D43C522
	v_mfma_f32_16x16x32_fp8_fp8 v[80:83], a[36:37], v[228:229], v[80:83]// 0000000062B8: D3F30050 0D43C924
	buffer_load_dword v23, v11, s[32:35], 0 offen              // 0000000062C0: E0501000 8008170B
	ds_read_b128 v[192:195], v2                                // 0000000062C8: D9FE0000 C0000002
	ds_read_b32 v15, v3 offset:8320                            // 0000000062D0: D86C2080 0F000003
	v_mfma_f32_16x16x32_fp8_fp8 v[80:83], a[38:39], v[230:231], v[80:83]// 0000000062D8: D3F30050 0D43CD26
	v_mfma_f32_16x16x32_fp8_fp8 v[84:87], a[32:33], v[240:241], 0// 0000000062E0: D3F30054 0A03E120
	buffer_load_dwordx4 a[4:7], v40, s[24:27], 0 offen offset:1024// 0000000062E8: E05C1400 80860428
	v_mfma_f32_16x16x32_fp8_fp8 v[84:87], a[34:35], v[242:243], v[84:87]// 0000000062F0: D3F30054 0D53E522
	v_mfma_f32_16x16x32_fp8_fp8 v[84:87], a[36:37], v[244:245], v[84:87]// 0000000062F8: D3F30054 0D53E924
	ds_read_b128 v[196:199], v2 offset:64                      // 000000006300: D9FE0040 C4000002
	ds_read_b32 v16, v3 offset:8576                            // 000000006308: D86C2180 10000003
	v_mfma_f32_16x16x32_fp8_fp8 v[84:87], a[38:39], v[246:247], v[84:87]// 000000006310: D3F30054 0D53ED26
	v_mfma_f32_16x16x32_fp8_fp8 v[88:91], a[48:49], v[224:225], 0// 000000006318: D3F30058 0A03C130
	buffer_load_dwordx4 a[16:19], v41, s[24:27], 0 offen       // 000000006320: E05C1000 80861029
	v_mfma_f32_16x16x32_fp8_fp8 v[88:91], a[50:51], v[226:227], v[88:91]// 000000006328: D3F30058 0D63C532
	v_mfma_f32_16x16x32_fp8_fp8 v[88:91], a[52:53], v[228:229], v[88:91]// 000000006330: D3F30058 0D63C934
	ds_read_b128 v[200:203], v2 offset:128                     // 000000006338: D9FE0080 C8000002
	ds_read_b32 v17, v3 offset:8832                            // 000000006340: D86C2280 11000003
	v_mfma_f32_16x16x32_fp8_fp8 v[88:91], a[54:55], v[230:231], v[88:91]// 000000006348: D3F30058 0D63CD36
	v_mfma_f32_16x16x32_fp8_fp8 v[92:95], a[48:49], v[240:241], 0// 000000006350: D3F3005C 0A03E130
	buffer_load_dwordx4 a[20:23], v41, s[24:27], 0 offen offset:1024// 000000006358: E05C1400 80861429
	v_mfma_f32_16x16x32_fp8_fp8 v[92:95], a[50:51], v[242:243], v[92:95]// 000000006360: D3F3005C 0D73E532
	v_mfma_f32_16x16x32_fp8_fp8 v[92:95], a[52:53], v[244:245], v[92:95]// 000000006368: D3F3005C 0D73E934
	ds_read_b128 v[204:207], v2 offset:192                     // 000000006370: D9FE00C0 CC000002
	ds_read_b32 v18, v3 offset:9088                            // 000000006378: D86C2380 12000003
	v_mfma_f32_16x16x32_fp8_fp8 v[92:95], a[54:55], v[246:247], v[92:95]// 000000006380: D3F3005C 0D73ED36
	v_mul_f32_dpp v50, v24, v19 row_newbcast:0 row_mask:0xf bank_mask:0xf// 000000006388: 0A6426FA FF015018
	v_mov_b32_e32 v51, v50                                     // 000000006390: 7E660332
	v_pk_fma_f32 v[64:65], v[80:81], v[50:51], v[64:65]        // 000000006394: D3B04040 1D026550
	v_pk_fma_f32 v[66:67], v[82:83], v[50:51], v[66:67]        // 00000000639C: D3B04042 1D0A6552
	v_pk_fma_f32 v[72:73], v[88:89], v[50:51], v[72:73]        // 0000000063A4: D3B04048 1D226558
	v_pk_fma_f32 v[74:75], v[90:91], v[50:51], v[74:75]        // 0000000063AC: D3B0404A 1D2A655A
	v_mul_f32_dpp v50, v24, v20 row_newbcast:0 row_mask:0xf bank_mask:0xf// 0000000063B4: 0A6428FA FF015018
	v_mov_b32_e32 v51, v50                                     // 0000000063BC: 7E660332
	v_pk_fma_f32 v[68:69], v[84:85], v[50:51], v[68:69]        // 0000000063C0: D3B04044 1D126554
	v_pk_fma_f32 v[70:71], v[86:87], v[50:51], v[70:71]        // 0000000063C8: D3B04046 1D1A6556
	v_pk_fma_f32 v[76:77], v[92:93], v[50:51], v[76:77]        // 0000000063D0: D3B0404C 1D32655C
	v_pk_fma_f32 v[78:79], v[94:95], v[50:51], v[78:79]        // 0000000063D8: D3B0404E 1D3A655E
	v_mfma_f32_16x16x32_fp8_fp8 v[80:83], a[40:41], v[232:233], 0// 0000000063E0: D3F30050 0A03D128
	buffer_load_dwordx4 a[8:11], v40, s[24:27], 0 offen offset:2048// 0000000063E8: E05C1800 80860828
	v_mfma_f32_16x16x32_fp8_fp8 v[80:83], a[42:43], v[234:235], v[80:83]// 0000000063F0: D3F30050 0D43D52A
	v_mfma_f32_16x16x32_fp8_fp8 v[80:83], a[44:45], v[236:237], v[80:83]// 0000000063F8: D3F30050 0D43D92C
	ds_read_b128 v[208:211], v2 offset:1024                    // 000000006400: D9FE0400 D0000002
	v_mfma_f32_16x16x32_fp8_fp8 v[80:83], a[46:47], v[238:239], v[80:83]// 000000006408: D3F30050 0D43DD2E
	v_mfma_f32_16x16x32_fp8_fp8 v[84:87], a[40:41], v[248:249], 0// 000000006410: D3F30054 0A03F128
	buffer_load_dwordx4 a[12:15], v40, s[24:27], 0 offen offset:3072// 000000006418: E05C1C00 80860C28
	v_mfma_f32_16x16x32_fp8_fp8 v[84:87], a[42:43], v[250:251], v[84:87]// 000000006420: D3F30054 0D53F52A
	v_mfma_f32_16x16x32_fp8_fp8 v[84:87], a[44:45], v[252:253], v[84:87]// 000000006428: D3F30054 0D53F92C
	ds_read_b128 v[212:215], v2 offset:1088                    // 000000006430: D9FE0440 D4000002
	v_mfma_f32_16x16x32_fp8_fp8 v[84:87], a[46:47], v[254:255], v[84:87]// 000000006438: D3F30054 0D53FD2E
	v_mfma_f32_16x16x32_fp8_fp8 v[88:91], a[56:57], v[232:233], 0// 000000006440: D3F30058 0A03D138
	buffer_load_dwordx4 a[24:27], v41, s[24:27], 0 offen offset:2048// 000000006448: E05C1800 80861829
	v_mfma_f32_16x16x32_fp8_fp8 v[88:91], a[58:59], v[234:235], v[88:91]// 000000006450: D3F30058 0D63D53A
	v_mfma_f32_16x16x32_fp8_fp8 v[88:91], a[60:61], v[236:237], v[88:91]// 000000006458: D3F30058 0D63D93C
	ds_read_b128 v[216:219], v2 offset:1152                    // 000000006460: D9FE0480 D8000002
	v_mfma_f32_16x16x32_fp8_fp8 v[88:91], a[62:63], v[238:239], v[88:91]// 000000006468: D3F30058 0D63DD3E
	v_mfma_f32_16x16x32_fp8_fp8 v[92:95], a[56:57], v[248:249], 0// 000000006470: D3F3005C 0A03F138
	buffer_load_dwordx4 a[28:31], v41, s[24:27], 0 offen offset:3072// 000000006478: E05C1C00 80861C29
	v_mfma_f32_16x16x32_fp8_fp8 v[92:95], a[58:59], v[250:251], v[92:95]// 000000006480: D3F3005C 0D73F53A
	v_mfma_f32_16x16x32_fp8_fp8 v[92:95], a[60:61], v[252:253], v[92:95]// 000000006488: D3F3005C 0D73F93C
	ds_read_b128 v[220:223], v2 offset:1216                    // 000000006490: D9FE04C0 DC000002
	v_mfma_f32_16x16x32_fp8_fp8 v[92:95], a[62:63], v[254:255], v[92:95]// 000000006498: D3F3005C 0D73FD3E
	v_mul_f32_dpp v50, v24, v21 row_newbcast:2 row_mask:0xf bank_mask:0xf// 0000000064A0: 0A642AFA FF015218
	v_mov_b32_e32 v51, v50                                     // 0000000064A8: 7E660332
	v_pk_fma_f32 v[64:65], v[80:81], v[50:51], v[64:65]        // 0000000064AC: D3B04040 1D026550
	v_pk_fma_f32 v[66:67], v[82:83], v[50:51], v[66:67]        // 0000000064B4: D3B04042 1D0A6552
	v_pk_fma_f32 v[72:73], v[88:89], v[50:51], v[72:73]        // 0000000064BC: D3B04048 1D226558
	v_pk_fma_f32 v[74:75], v[90:91], v[50:51], v[74:75]        // 0000000064C4: D3B0404A 1D2A655A
	v_mul_f32_dpp v50, v24, v22 row_newbcast:2 row_mask:0xf bank_mask:0xf// 0000000064CC: 0A642CFA FF015218
	v_mov_b32_e32 v51, v50                                     // 0000000064D4: 7E660332
	v_pk_fma_f32 v[68:69], v[84:85], v[50:51], v[68:69]        // 0000000064D8: D3B04044 1D126554
	v_pk_fma_f32 v[70:71], v[86:87], v[50:51], v[70:71]        // 0000000064E0: D3B04046 1D1A6556
	v_pk_fma_f32 v[76:77], v[92:93], v[50:51], v[76:77]        // 0000000064E8: D3B0404C 1D32655C
	v_pk_fma_f32 v[78:79], v[94:95], v[50:51], v[78:79]        // 0000000064F0: D3B0404E 1D3A655E
	s_add_u32 s60, 0x200, s80                                  // 0000000064F8: 803C50FF 00000200
	s_cmp_lt_u32 s60, s81                                      // 000000006500: BF0A513C
	s_cselect_b32 s57, s57, 0                                  // 000000006504: 85398039
	s_cselect_b32 s3, s3, 0                                    // 000000006508: 85038003
	s_add_u32 s60, 0x200, s80                                  // 00000000650C: 803C50FF 00000200
	s_cmp_lt_u32 s60, s81                                      // 000000006514: BF0A513C
	s_cselect_b32 s58, s58, 0                                  // 000000006518: 853A803A
	s_add_u32 s20, s57, s20                                    // 00000000651C: 80141439
	s_addc_u32 s21, 0, s21                                     // 000000006520: 82151580
	s_add_u32 s28, s3, s28                                     // 000000006524: 801C1C03
	s_addc_u32 s29, 0, s29                                     // 000000006528: 821D1D80
	s_add_u32 s24, s58, s24                                    // 00000000652C: 8018183A
	s_addc_u32 s25, 0, s25                                     // 000000006530: 82191980
	s_add_u32 s92, s90, s92                                    // 000000006534: 805C5C5A
	s_addc_u32 s93, 0, s93                                     // 000000006538: 825D5D80
	s_addk_i32 s80, 0x100                                      // 00000000653C: B7500100
	s_cmp_lt_i32 s80, s81                                      // 000000006540: BF045150
	s_cbranch_scc0 label_0DD3                                  // 000000006544: BF840001
	s_branch label_0B2A                                        // 000000006548: BF82FD57

000000000000654c <label_0DD3>:
	s_mov_b32 s20, 0                                           // 00000000654C: BE940080
	s_cmp_lt_u32 s89, s66                                      // 000000006550: BF0A4259
	s_cselect_b32 s60, 0, 1                                    // 000000006554: 853C8180
	s_lshl1_add_u32 s20, s20, s60                              // 000000006558: 97143C14
	s_cmp_lt_u32 s88, s66                                      // 00000000655C: BF0A4258
	s_cselect_b32 s60, 0, 1                                    // 000000006560: 853C8180
	s_lshl1_add_u32 s20, s20, s60                              // 000000006564: 97143C14
	s_cmp_lt_u32 s87, s66                                      // 000000006568: BF0A4257
	s_cselect_b32 s60, 0, 1                                    // 00000000656C: 853C8180
	s_lshl1_add_u32 s20, s20, s60                              // 000000006570: 97143C14
	s_cmp_lt_u32 s86, s66                                      // 000000006574: BF0A4256
	s_cselect_b32 s60, 0, 1                                    // 000000006578: 853C8180
	s_lshl1_add_u32 s20, s20, s60                              // 00000000657C: 97143C14
	s_cmp_lt_u32 s85, s66                                      // 000000006580: BF0A4255
	s_cselect_b32 s60, 0, 1                                    // 000000006584: 853C8180
	s_lshl1_add_u32 s20, s20, s60                              // 000000006588: 97143C14
	s_cmp_lt_u32 s84, s66                                      // 00000000658C: BF0A4254
	s_cselect_b32 s60, 0, 1                                    // 000000006590: 853C8180
	s_lshl1_add_u32 s20, s20, s60                              // 000000006594: 97143C14
	s_cmp_lt_u32 s83, s66                                      // 000000006598: BF0A4253
	s_cselect_b32 s60, 0, 1                                    // 00000000659C: 853C8180
	s_lshl1_add_u32 s20, s20, s60                              // 0000000065A0: 97143C14
	s_cmp_lt_u32 s82, s66                                      // 0000000065A4: BF0A4252
	s_cselect_b32 s60, 0, 1                                    // 0000000065A8: 853C8180
	s_lshl1_add_u32 s20, s20, s60                              // 0000000065AC: 97143C14
	s_waitcnt vmcnt(4)                                         // 0000000065B0: BF8C0F74
	buffer_load_dwordx4 a[0:3], v42, s[12:15], 0 offen         // 0000000065B4: E05C1000 8083002A
	v_mul_f32_e32 v50, v128, v128                              // 0000000065BC: 0A650180
	v_mul_f32_e32 v51, v129, v129                              // 0000000065C0: 0A670381
	v_mul_f32_e32 v52, v130, v130                              // 0000000065C4: 0A690582
	v_mul_f32_e32 v53, v131, v131                              // 0000000065C8: 0A6B0783
	v_fma_f32 v50, v50, s77, v1                                // 0000000065CC: D1CB0032 04049B32
	v_fma_f32 v51, v51, s77, v1                                // 0000000065D4: D1CB0033 04049B33
	v_fma_f32 v52, v52, s77, v1                                // 0000000065DC: D1CB0034 04049B34
	v_fma_f32 v53, v53, s77, v1                                // 0000000065E4: D1CB0035 04049B35
	v_mul_f32_e32 v50, v50, v128                               // 0000000065EC: 0A650132
	v_mul_f32_e32 v51, v51, v129                               // 0000000065F0: 0A670333
	v_mul_f32_e32 v52, v52, v130                               // 0000000065F4: 0A690534
	v_mul_f32_e32 v53, v53, v131                               // 0000000065F8: 0A6B0735
	v_mul_f32_e64 v50, v50, s6                                 // 0000000065FC: D1050032 00000D32
	v_mul_f32_e64 v51, v51, s6                                 // 000000006604: D1050033 00000D33
	v_mul_f32_e64 v52, v52, s6                                 // 00000000660C: D1050034 00000D34
	v_mul_f32_e64 v53, v53, s6                                 // 000000006614: D1050035 00000D35
	v_exp_f32_e32 v50, v50                                     // 00000000661C: 7E644132
	v_exp_f32_e32 v51, v51                                     // 000000006620: 7E664133
	v_exp_f32_e32 v52, v52                                     // 000000006624: 7E684134
	v_exp_f32_e32 v53, v53                                     // 000000006628: 7E6A4135
	buffer_load_dwordx4 a[4:7], v43, s[12:15], 0 offen         // 00000000662C: E05C1000 8083042B
	v_add_f32_e64 v50, v50, 1.0                                // 000000006634: D1010032 0001E532
	v_add_f32_e64 v51, v51, 1.0                                // 00000000663C: D1010033 0001E533
	v_add_f32_e64 v52, v52, 1.0                                // 000000006644: D1010034 0001E534
	v_add_f32_e64 v53, v53, 1.0                                // 00000000664C: D1010035 0001E535
	v_rcp_f32_e32 v50, v50                                     // 000000006654: 7E644532
	v_rcp_f32_e32 v51, v51                                     // 000000006658: 7E664533
	v_rcp_f32_e32 v52, v52                                     // 00000000665C: 7E684534
	v_rcp_f32_e32 v53, v53                                     // 000000006660: 7E6A4535
	v_mul_f32_e32 v128, v128, v50                              // 000000006664: 0B006580
	v_mul_f32_e32 v129, v129, v51                              // 000000006668: 0B026781
	v_mul_f32_e32 v130, v130, v52                              // 00000000666C: 0B046982
	v_mul_f32_e32 v131, v131, v53                              // 000000006670: 0B066B83
	v_mul_f32_e32 v128, v128, v64                              // 000000006674: 0B008180
	v_mul_f32_e32 v129, v129, v65                              // 000000006678: 0B028381
	v_mul_f32_e32 v130, v130, v66                              // 00000000667C: 0B048582
	v_mul_f32_e32 v131, v131, v67                              // 000000006680: 0B068783
	buffer_load_dwordx4 a[8:11], v44, s[12:15], 0 offen        // 000000006684: E05C1000 8083082C
	v_mul_f32_e32 v50, v132, v132                              // 00000000668C: 0A650984
	v_mul_f32_e32 v51, v133, v133                              // 000000006690: 0A670B85
	v_mul_f32_e32 v52, v134, v134                              // 000000006694: 0A690D86
	v_mul_f32_e32 v53, v135, v135                              // 000000006698: 0A6B0F87
	v_fma_f32 v50, v50, s77, v1                                // 00000000669C: D1CB0032 04049B32
	v_fma_f32 v51, v51, s77, v1                                // 0000000066A4: D1CB0033 04049B33
	v_fma_f32 v52, v52, s77, v1                                // 0000000066AC: D1CB0034 04049B34
	v_fma_f32 v53, v53, s77, v1                                // 0000000066B4: D1CB0035 04049B35
	v_mul_f32_e32 v50, v50, v132                               // 0000000066BC: 0A650932
	v_mul_f32_e32 v51, v51, v133                               // 0000000066C0: 0A670B33
	v_mul_f32_e32 v52, v52, v134                               // 0000000066C4: 0A690D34
	v_mul_f32_e32 v53, v53, v135                               // 0000000066C8: 0A6B0F35
	v_mul_f32_e64 v50, v50, s6                                 // 0000000066CC: D1050032 00000D32
	v_mul_f32_e64 v51, v51, s6                                 // 0000000066D4: D1050033 00000D33
	v_mul_f32_e64 v52, v52, s6                                 // 0000000066DC: D1050034 00000D34
	v_mul_f32_e64 v53, v53, s6                                 // 0000000066E4: D1050035 00000D35
	v_exp_f32_e32 v50, v50                                     // 0000000066EC: 7E644132
	v_exp_f32_e32 v51, v51                                     // 0000000066F0: 7E664133
	v_exp_f32_e32 v52, v52                                     // 0000000066F4: 7E684134
	v_exp_f32_e32 v53, v53                                     // 0000000066F8: 7E6A4135
	buffer_load_dwordx4 a[12:15], v45, s[12:15], 0 offen       // 0000000066FC: E05C1000 80830C2D
	s_add_u32 s12, s78, s12                                    // 000000006704: 800C0C4E
	s_addc_u32 s13, 0, s13                                     // 000000006708: 820D0D80
	v_add_f32_e64 v50, v50, 1.0                                // 00000000670C: D1010032 0001E532
	v_add_f32_e64 v51, v51, 1.0                                // 000000006714: D1010033 0001E533
	v_add_f32_e64 v52, v52, 1.0                                // 00000000671C: D1010034 0001E534
	v_add_f32_e64 v53, v53, 1.0                                // 000000006724: D1010035 0001E535
	v_rcp_f32_e32 v50, v50                                     // 00000000672C: 7E644532
	v_rcp_f32_e32 v51, v51                                     // 000000006730: 7E664533
	v_rcp_f32_e32 v52, v52                                     // 000000006734: 7E684534
	v_rcp_f32_e32 v53, v53                                     // 000000006738: 7E6A4535
	v_mul_f32_e32 v132, v132, v50                              // 00000000673C: 0B086584
	v_mul_f32_e32 v133, v133, v51                              // 000000006740: 0B0A6785
	v_mul_f32_e32 v134, v134, v52                              // 000000006744: 0B0C6986
	v_mul_f32_e32 v135, v135, v53                              // 000000006748: 0B0E6B87
	v_mul_f32_e32 v132, v132, v68                              // 00000000674C: 0B088984
	v_mul_f32_e32 v133, v133, v69                              // 000000006750: 0B0A8B85
	v_mul_f32_e32 v134, v134, v70                              // 000000006754: 0B0C8D86
	v_mul_f32_e32 v135, v135, v71                              // 000000006758: 0B0E8F87
	s_waitcnt vmcnt(4)                                         // 00000000675C: BF8C0F74
	buffer_load_dwordx4 a[16:19], v42, s[12:15], 0 offen       // 000000006760: E05C1000 8083102A
	v_mul_f32_e32 v50, v136, v136                              // 000000006768: 0A651188
	v_mul_f32_e32 v51, v137, v137                              // 00000000676C: 0A671389
	v_mul_f32_e32 v52, v138, v138                              // 000000006770: 0A69158A
	v_mul_f32_e32 v53, v139, v139                              // 000000006774: 0A6B178B
	v_fma_f32 v50, v50, s77, v1                                // 000000006778: D1CB0032 04049B32
	v_fma_f32 v51, v51, s77, v1                                // 000000006780: D1CB0033 04049B33
	v_fma_f32 v52, v52, s77, v1                                // 000000006788: D1CB0034 04049B34
	v_fma_f32 v53, v53, s77, v1                                // 000000006790: D1CB0035 04049B35
	v_mul_f32_e32 v50, v50, v136                               // 000000006798: 0A651132
	v_mul_f32_e32 v51, v51, v137                               // 00000000679C: 0A671333
	v_mul_f32_e32 v52, v52, v138                               // 0000000067A0: 0A691534
	v_mul_f32_e32 v53, v53, v139                               // 0000000067A4: 0A6B1735
	v_mul_f32_e64 v50, v50, s6                                 // 0000000067A8: D1050032 00000D32
	v_mul_f32_e64 v51, v51, s6                                 // 0000000067B0: D1050033 00000D33
	v_mul_f32_e64 v52, v52, s6                                 // 0000000067B8: D1050034 00000D34
	v_mul_f32_e64 v53, v53, s6                                 // 0000000067C0: D1050035 00000D35
	v_exp_f32_e32 v50, v50                                     // 0000000067C8: 7E644132
	v_exp_f32_e32 v51, v51                                     // 0000000067CC: 7E664133
	v_exp_f32_e32 v52, v52                                     // 0000000067D0: 7E684134
	v_exp_f32_e32 v53, v53                                     // 0000000067D4: 7E6A4135
	buffer_load_dwordx4 a[20:23], v43, s[12:15], 0 offen       // 0000000067D8: E05C1000 8083142B
	v_add_f32_e64 v50, v50, 1.0                                // 0000000067E0: D1010032 0001E532
	v_add_f32_e64 v51, v51, 1.0                                // 0000000067E8: D1010033 0001E533
	v_add_f32_e64 v52, v52, 1.0                                // 0000000067F0: D1010034 0001E534
	v_add_f32_e64 v53, v53, 1.0                                // 0000000067F8: D1010035 0001E535
	v_rcp_f32_e32 v50, v50                                     // 000000006800: 7E644532
	v_rcp_f32_e32 v51, v51                                     // 000000006804: 7E664533
	v_rcp_f32_e32 v52, v52                                     // 000000006808: 7E684534
	v_rcp_f32_e32 v53, v53                                     // 00000000680C: 7E6A4535
	v_mul_f32_e32 v136, v136, v50                              // 000000006810: 0B106588
	v_mul_f32_e32 v137, v137, v51                              // 000000006814: 0B126789
	v_mul_f32_e32 v138, v138, v52                              // 000000006818: 0B14698A
	v_mul_f32_e32 v139, v139, v53                              // 00000000681C: 0B166B8B
	v_mul_f32_e32 v136, v136, v72                              // 000000006820: 0B109188
	v_mul_f32_e32 v137, v137, v73                              // 000000006824: 0B129389
	v_mul_f32_e32 v138, v138, v74                              // 000000006828: 0B14958A
	v_mul_f32_e32 v139, v139, v75                              // 00000000682C: 0B16978B
	buffer_load_dwordx4 a[24:27], v44, s[12:15], 0 offen       // 000000006830: E05C1000 8083182C
	v_mul_f32_e32 v50, v140, v140                              // 000000006838: 0A65198C
	v_mul_f32_e32 v51, v141, v141                              // 00000000683C: 0A671B8D
	v_mul_f32_e32 v52, v142, v142                              // 000000006840: 0A691D8E
	v_mul_f32_e32 v53, v143, v143                              // 000000006844: 0A6B1F8F
	v_fma_f32 v50, v50, s77, v1                                // 000000006848: D1CB0032 04049B32
	v_fma_f32 v51, v51, s77, v1                                // 000000006850: D1CB0033 04049B33
	v_fma_f32 v52, v52, s77, v1                                // 000000006858: D1CB0034 04049B34
	v_fma_f32 v53, v53, s77, v1                                // 000000006860: D1CB0035 04049B35
	v_mul_f32_e32 v50, v50, v140                               // 000000006868: 0A651932
	v_mul_f32_e32 v51, v51, v141                               // 00000000686C: 0A671B33
	v_mul_f32_e32 v52, v52, v142                               // 000000006870: 0A691D34
	v_mul_f32_e32 v53, v53, v143                               // 000000006874: 0A6B1F35
	v_mul_f32_e64 v50, v50, s6                                 // 000000006878: D1050032 00000D32
	v_mul_f32_e64 v51, v51, s6                                 // 000000006880: D1050033 00000D33
	v_mul_f32_e64 v52, v52, s6                                 // 000000006888: D1050034 00000D34
	v_mul_f32_e64 v53, v53, s6                                 // 000000006890: D1050035 00000D35
	v_exp_f32_e32 v50, v50                                     // 000000006898: 7E644132
	v_exp_f32_e32 v51, v51                                     // 00000000689C: 7E664133
	v_exp_f32_e32 v52, v52                                     // 0000000068A0: 7E684134
	v_exp_f32_e32 v53, v53                                     // 0000000068A4: 7E6A4135
	buffer_load_dwordx4 a[28:31], v45, s[12:15], 0 offen       // 0000000068A8: E05C1000 80831C2D
	v_add_f32_e64 v50, v50, 1.0                                // 0000000068B0: D1010032 0001E532
	v_add_f32_e64 v51, v51, 1.0                                // 0000000068B8: D1010033 0001E533
	v_add_f32_e64 v52, v52, 1.0                                // 0000000068C0: D1010034 0001E534
	v_add_f32_e64 v53, v53, 1.0                                // 0000000068C8: D1010035 0001E535
	v_rcp_f32_e32 v50, v50                                     // 0000000068D0: 7E644532
	v_rcp_f32_e32 v51, v51                                     // 0000000068D4: 7E664533
	v_rcp_f32_e32 v52, v52                                     // 0000000068D8: 7E684534
	v_rcp_f32_e32 v53, v53                                     // 0000000068DC: 7E6A4535
	v_mul_f32_e32 v140, v140, v50                              // 0000000068E0: 0B18658C
	v_mul_f32_e32 v141, v141, v51                              // 0000000068E4: 0B1A678D
	v_mul_f32_e32 v142, v142, v52                              // 0000000068E8: 0B1C698E
	v_mul_f32_e32 v143, v143, v53                              // 0000000068EC: 0B1E6B8F
	v_mul_f32_e32 v140, v140, v76                              // 0000000068F0: 0B18998C
	v_mul_f32_e32 v141, v141, v77                              // 0000000068F4: 0B1A9B8D
	v_mul_f32_e32 v142, v142, v78                              // 0000000068F8: 0B1C9D8E
	v_mul_f32_e32 v143, v143, v79                              // 0000000068FC: 0B1E9F8F
	v_lshlrev_b32_e32 v50, 2, v0                               // 000000006900: 24640082
	s_mul_i32 s60, s82, s71                                    // 000000006904: 923C4752
	v_add_u32_e64 v80, v50, s60                                // 000000006908: D1340050 00007932
	v_mov_b32_e32 v81, 0                                       // 000000006910: 7EA20280
	s_mul_i32 s60, s83, s71                                    // 000000006914: 923C4753
	v_add_u32_e64 v82, v50, s60                                // 000000006918: D1340052 00007932
	v_mov_b32_e32 v83, 0                                       // 000000006920: 7EA60280
	s_mul_i32 s60, s84, s71                                    // 000000006924: 923C4754
	v_add_u32_e64 v84, v50, s60                                // 000000006928: D1340054 00007932
	v_mov_b32_e32 v85, 0                                       // 000000006930: 7EAA0280
	s_mul_i32 s60, s85, s71                                    // 000000006934: 923C4755
	v_add_u32_e64 v86, v50, s60                                // 000000006938: D1340056 00007932
	v_mov_b32_e32 v87, 0                                       // 000000006940: 7EAE0280
	s_mul_i32 s60, s86, s71                                    // 000000006944: 923C4756
	v_add_u32_e64 v88, v50, s60                                // 000000006948: D1340058 00007932
	v_mov_b32_e32 v89, 0                                       // 000000006950: 7EB20280
	s_mul_i32 s60, s87, s71                                    // 000000006954: 923C4757
	v_add_u32_e64 v90, v50, s60                                // 000000006958: D134005A 00007932
	v_mov_b32_e32 v91, 0                                       // 000000006960: 7EB60280
	s_mul_i32 s60, s88, s71                                    // 000000006964: 923C4758
	v_add_u32_e64 v92, v50, s60                                // 000000006968: D134005C 00007932
	v_mov_b32_e32 v93, 0                                       // 000000006970: 7EBA0280
	s_mul_i32 s60, s89, s71                                    // 000000006974: 923C4759
	v_add_u32_e64 v94, v50, s60                                // 000000006978: D134005E 00007932
	v_mov_b32_e32 v95, 0                                       // 000000006980: 7EBE0280
	buffer_load_dword v23, v6, s[16:19], 0 offen               // 000000006984: E0501000 80041706
	v_mov_b32_e32 v28, 0x358637bd                              // 00000000698C: 7E3802FF 358637BD
	v_mov_b32_e32 v29, 0x358637bd                              // 000000006994: 7E3A02FF 358637BD
	v_max3_f32 v28, |v128|, |v129|, v28                        // 00000000699C: D1D3031C 04730380
	v_max3_f32 v28, |v130|, |v131|, v28                        // 0000000069A4: D1D3031C 04730782
	v_max3_f32 v29, |v132|, |v133|, v29                        // 0000000069AC: D1D3031D 04770B84
	v_max3_f32 v29, |v134|, |v135|, v29                        // 0000000069B4: D1D3031D 04770F86
	v_max3_f32 v28, |v136|, |v137|, v28                        // 0000000069BC: D1D3031C 04731388
	v_max3_f32 v28, |v138|, |v139|, v28                        // 0000000069C4: D1D3031C 0473178A
	v_max3_f32 v29, |v140|, |v141|, v29                        // 0000000069CC: D1D3031D 04771B8C
	v_max3_f32 v29, |v142|, |v143|, v29                        // 0000000069D4: D1D3031D 04771F8E
	v_lshlrev_b32_e32 v50, 3, v0                               // 0000000069DC: 24640083
	s_mul_i32 s60, 0x200, s7                                   // 0000000069E0: 923C07FF 00000200
	v_add_u32_e32 v50, s60, v50                                // 0000000069E8: 6864643C
	ds_write_b64 v50, v[28:29] offset:18688                    // 0000000069EC: D89A4900 00001C32
	s_waitcnt lgkmcnt(0)                                       // 0000000069F4: BF8CC07F
	s_barrier                                                  // 0000000069F8: BF8A0000
	v_and_b32_e32 v50, 15, v0                                  // 0000000069FC: 2664008F
	v_lshlrev_b32_e32 v50, 3, v50                              // 000000006A00: 24646483
	ds_read_b64 v[96:97], v50 offset:18688                     // 000000006A04: D8EC4900 60000032
	ds_read_b64 v[98:99], v50 offset:18816                     // 000000006A0C: D8EC4980 62000032
	ds_read_b64 v[100:101], v50 offset:18944                   // 000000006A14: D8EC4A00 64000032
	ds_read_b64 v[102:103], v50 offset:19072                   // 000000006A1C: D8EC4A80 66000032
	ds_read_b64 v[104:105], v50 offset:19200                   // 000000006A24: D8EC4B00 68000032
	ds_read_b64 v[106:107], v50 offset:19328                   // 000000006A2C: D8EC4B80 6A000032
	ds_read_b64 v[108:109], v50 offset:19456                   // 000000006A34: D8EC4C00 6C000032
	ds_read_b64 v[110:111], v50 offset:19584                   // 000000006A3C: D8EC4C80 6E000032
	ds_read_b64 v[112:113], v50 offset:19712                   // 000000006A44: D8EC4D00 70000032
	ds_read_b64 v[114:115], v50 offset:19840                   // 000000006A4C: D8EC4D80 72000032
	ds_read_b64 v[116:117], v50 offset:19968                   // 000000006A54: D8EC4E00 74000032
	ds_read_b64 v[118:119], v50 offset:20096                   // 000000006A5C: D8EC4E80 76000032
	ds_read_b64 v[120:121], v50 offset:20224                   // 000000006A64: D8EC4F00 78000032
	ds_read_b64 v[122:123], v50 offset:20352                   // 000000006A6C: D8EC4F80 7A000032
	ds_read_b64 v[124:125], v50 offset:20480                   // 000000006A74: D8EC5000 7C000032
	ds_read_b64 v[126:127], v50 offset:20608                   // 000000006A7C: D8EC5080 7E000032
	s_waitcnt lgkmcnt(0)                                       // 000000006A84: BF8CC07F
	v_max3_f32 v28, |v96|, |v98|, v28                          // 000000006A88: D1D3031C 0472C560
	v_max3_f32 v29, |v97|, |v99|, v29                          // 000000006A90: D1D3031D 0476C761
	v_max3_f32 v28, |v100|, |v102|, v28                        // 000000006A98: D1D3031C 0472CD64
	v_max3_f32 v29, |v101|, |v103|, v29                        // 000000006AA0: D1D3031D 0476CF65
	v_max3_f32 v28, |v104|, |v106|, v28                        // 000000006AA8: D1D3031C 0472D568
	v_max3_f32 v29, |v105|, |v107|, v29                        // 000000006AB0: D1D3031D 0476D769
	v_max3_f32 v28, |v108|, |v110|, v28                        // 000000006AB8: D1D3031C 0472DD6C
	v_max3_f32 v29, |v109|, |v111|, v29                        // 000000006AC0: D1D3031D 0476DF6D
	v_max3_f32 v28, |v112|, |v114|, v28                        // 000000006AC8: D1D3031C 0472E570
	v_max3_f32 v29, |v113|, |v115|, v29                        // 000000006AD0: D1D3031D 0476E771
	v_max3_f32 v28, |v116|, |v118|, v28                        // 000000006AD8: D1D3031C 0472ED74
	v_max3_f32 v29, |v117|, |v119|, v29                        // 000000006AE0: D1D3031D 0476EF75
	v_max3_f32 v28, |v120|, |v122|, v28                        // 000000006AE8: D1D3031C 0472F578
	v_max3_f32 v29, |v121|, |v123|, v29                        // 000000006AF0: D1D3031D 0476F779
	v_max3_f32 v28, |v124|, |v126|, v28                        // 000000006AF8: D1D3031C 0472FD7C
	v_max3_f32 v29, |v125|, |v127|, v29                        // 000000006B00: D1D3031D 0476FF7D
	v_rcp_f32_e32 v28, v28                                     // 000000006B08: 7E38451C
	v_rcp_f32_e32 v29, v29                                     // 000000006B0C: 7E3A451D
	v_mov_b32_e32 v50, 0x43700000                              // 000000006B10: 7E6402FF 43700000
	v_mul_f32_e32 v28, v50, v28                                // 000000006B18: 0A383932
	v_mul_f32_e32 v29, v50, v29                                // 000000006B1C: 0A3A3B32
	v_mul_f32_e32 v128, v28, v128                              // 000000006B20: 0B01011C
	v_mul_f32_e32 v129, v28, v129                              // 000000006B24: 0B03031C
	v_mul_f32_e32 v130, v28, v130                              // 000000006B28: 0B05051C
	v_mul_f32_e32 v131, v28, v131                              // 000000006B2C: 0B07071C
	v_cvt_pk_fp8_f32 v128, v128, v129                          // 000000006B30: D2A20080 00030380
	v_cvt_pk_fp8_f32 v128, v130, v131 op_sel:[0,0,1]           // 000000006B38: D2A24080 00030782
	v_mul_f32_e32 v132, v29, v132                              // 000000006B40: 0B09091D
	v_mul_f32_e32 v133, v29, v133                              // 000000006B44: 0B0B0B1D
	v_mul_f32_e32 v134, v29, v134                              // 000000006B48: 0B0D0D1D
	v_mul_f32_e32 v135, v29, v135                              // 000000006B4C: 0B0F0F1D
	v_cvt_pk_fp8_f32 v129, v132, v133                          // 000000006B50: D2A20081 00030B84
	v_cvt_pk_fp8_f32 v129, v134, v135 op_sel:[0,0,1]           // 000000006B58: D2A24081 00030F86
	v_mul_f32_e32 v136, v28, v136                              // 000000006B60: 0B11111C
	v_mul_f32_e32 v137, v28, v137                              // 000000006B64: 0B13131C
	v_mul_f32_e32 v138, v28, v138                              // 000000006B68: 0B15151C
	v_mul_f32_e32 v139, v28, v139                              // 000000006B6C: 0B17171C
	v_cvt_pk_fp8_f32 v130, v136, v137                          // 000000006B70: D2A20082 00031388
	v_cvt_pk_fp8_f32 v130, v138, v139 op_sel:[0,0,1]           // 000000006B78: D2A24082 0003178A
	v_mul_f32_e32 v140, v29, v140                              // 000000006B80: 0B19191D
	v_mul_f32_e32 v141, v29, v141                              // 000000006B84: 0B1B1B1D
	v_mul_f32_e32 v142, v29, v142                              // 000000006B88: 0B1D1D1D
	v_mul_f32_e32 v143, v29, v143                              // 000000006B8C: 0B1F1F1D
	v_cvt_pk_fp8_f32 v131, v140, v141                          // 000000006B90: D2A20083 00031B8C
	v_cvt_pk_fp8_f32 v131, v142, v143 op_sel:[0,0,1]           // 000000006B98: D2A24083 00031F8E
	v_rcp_f32_e32 v30, v28                                     // 000000006BA0: 7E3C451C
	v_rcp_f32_e32 v31, v29                                     // 000000006BA4: 7E3E451D
	v_lshrrev_b32_e32 v50, 5, v0                               // 000000006BA8: 20640085
	v_lshlrev_b32_e32 v51, 5, v50                              // 000000006BAC: 24666485
	v_and_b32_e32 v50, 31, v0                                  // 000000006BB0: 2664009F
	v_lshrrev_b32_e32 v52, 4, v50                              // 000000006BB4: 20686484
	v_add_u32_e32 v51, v52, v51                                // 000000006BB8: 68666734
	v_and_b32_e32 v50, 15, v0                                  // 000000006BBC: 2664008F
	v_lshlrev_b32_e32 v50, 1, v50                              // 000000006BC0: 24646481
	v_add_u32_e32 v51, v50, v51                                // 000000006BC4: 68666732
	v_lshlrev_b32_e32 v50, 2, v51                              // 000000006BC8: 24646682
	s_mul_i32 s60, 0x100, s7                                   // 000000006BCC: 923C07FF 00000100
	v_add_u32_e64 v50, v50, s60                                // 000000006BD4: D1340032 00007932
	ds_write_b32 v50, v128 offset:20736                        // 000000006BDC: D81A5100 00008032
	ds_write_b32 v50, v129 offset:22784                        // 000000006BE4: D81A5900 00008132
	ds_write_b32 v50, v130 offset:21760                        // 000000006BEC: D81A5500 00008232
	ds_write_b32 v50, v131 offset:23808                        // 000000006BF4: D81A5D00 00008332
	s_waitcnt lgkmcnt(0)                                       // 000000006BFC: BF8CC07F
	s_barrier                                                  // 000000006C00: BF8A0000
	v_lshrrev_b32_e32 v50, 4, v0                               // 000000006C04: 20640084
	v_lshlrev_b32_e32 v51, 6, v50                              // 000000006C08: 24666486
	v_and_b32_e32 v50, 15, v0                                  // 000000006C0C: 2664008F
	v_lshlrev_b32_e32 v50, 1, v50                              // 000000006C10: 24646481
	v_add_u32_e32 v51, v50, v51                                // 000000006C14: 68666732
	v_lshlrev_b32_e32 v50, 2, v51                              // 000000006C18: 24646682
	ds_read_b64 v[128:129], v50 offset:20736                   // 000000006C1C: D8EC5100 80000032
	ds_read_b64 v[130:131], v50 offset:20864                   // 000000006C24: D8EC5180 82000032
	ds_read_b64 v[132:133], v50 offset:21760                   // 000000006C2C: D8EC5500 84000032
	ds_read_b64 v[134:135], v50 offset:21888                   // 000000006C34: D8EC5580 86000032
	ds_read_b64 v[136:137], v50 offset:22784                   // 000000006C3C: D8EC5900 88000032
	ds_read_b64 v[138:139], v50 offset:22912                   // 000000006C44: D8EC5980 8A000032
	ds_read_b64 v[140:141], v50 offset:23808                   // 000000006C4C: D8EC5D00 8C000032
	ds_read_b64 v[142:143], v50 offset:23936                   // 000000006C54: D8EC5D80 8E000032
	s_add_u32 s12, s56, s12                                    // 000000006C5C: 800C0C38
	s_addc_u32 s13, 0, s13                                     // 000000006C60: 820D0D80
	s_add_u32 s16, s79, s16                                    // 000000006C64: 8010104F
	s_addc_u32 s17, 0, s17                                     // 000000006C68: 82111180
	s_mov_b32 s80, 0                                           // 000000006C6C: BED00080
	s_waitcnt vmcnt(0) expcnt(0) lgkmcnt(0)                    // 000000006C70: BF8C0000

0000000000006c74 <label_0F9D>:
	s_waitcnt vmcnt(4)                                         // 000000006C74: BF8C0F74
	s_barrier                                                  // 000000006C78: BF8A0000
	v_mfma_f32_16x16x32_fp8_fp8 v[192:195], a[0:1], v[128:129], 0// 000000006C7C: D3F300C0 0A030100
	buffer_load_dwordx4 a[32:35], v42, s[12:15], 0 offen       // 000000006C84: E05C1000 8083202A
	v_mfma_f32_16x16x32_fp8_fp8 v[192:195], a[2:3], v[130:131], v[192:195]// 000000006C8C: D3F300C0 0F030502
	v_mfma_f32_16x16x32_fp8_fp8 v[196:199], a[0:1], v[136:137], 0// 000000006C94: D3F300C4 0A031100
	buffer_load_dword v24, v6, s[16:19], 0 offen               // 000000006C9C: E0501000 80041806
	v_mfma_f32_16x16x32_fp8_fp8 v[196:199], a[2:3], v[138:139], v[196:199]// 000000006CA4: D3F300C4 0F131502
	v_mfma_f32_16x16x32_fp8_fp8 v[200:203], a[4:5], v[128:129], 0// 000000006CAC: D3F300C8 0A030104
	buffer_load_dwordx4 a[36:39], v43, s[12:15], 0 offen       // 000000006CB4: E05C1000 8083242B
	v_mfma_f32_16x16x32_fp8_fp8 v[200:203], a[6:7], v[130:131], v[200:203]// 000000006CBC: D3F300C8 0F230506
	v_mfma_f32_16x16x32_fp8_fp8 v[204:207], a[4:5], v[136:137], 0// 000000006CC4: D3F300CC 0A031104
	v_mfma_f32_16x16x32_fp8_fp8 v[204:207], a[6:7], v[138:139], v[204:207]// 000000006CCC: D3F300CC 0F331506
	v_mfma_f32_16x16x32_fp8_fp8 v[208:211], a[8:9], v[128:129], 0// 000000006CD4: D3F300D0 0A030108
	buffer_load_dwordx4 a[40:43], v44, s[12:15], 0 offen       // 000000006CDC: E05C1000 8083282C
	v_mfma_f32_16x16x32_fp8_fp8 v[208:211], a[10:11], v[130:131], v[208:211]// 000000006CE4: D3F300D0 0F43050A
	v_mfma_f32_16x16x32_fp8_fp8 v[212:215], a[8:9], v[136:137], 0// 000000006CEC: D3F300D4 0A031108
	v_mfma_f32_16x16x32_fp8_fp8 v[212:215], a[10:11], v[138:139], v[212:215]// 000000006CF4: D3F300D4 0F53150A
	v_mfma_f32_16x16x32_fp8_fp8 v[216:219], a[12:13], v[128:129], 0// 000000006CFC: D3F300D8 0A03010C
	buffer_load_dwordx4 a[44:47], v45, s[12:15], 0 offen       // 000000006D04: E05C1000 80832C2D
	s_add_u32 s12, s78, s12                                    // 000000006D0C: 800C0C4E
	s_addc_u32 s13, 0, s13                                     // 000000006D10: 820D0D80
	v_mfma_f32_16x16x32_fp8_fp8 v[216:219], a[14:15], v[130:131], v[216:219]// 000000006D14: D3F300D8 0F63050E
	v_mfma_f32_16x16x32_fp8_fp8 v[220:223], a[12:13], v[136:137], 0// 000000006D1C: D3F300DC 0A03110C
	v_mfma_f32_16x16x32_fp8_fp8 v[220:223], a[14:15], v[138:139], v[220:223]// 000000006D24: D3F300DC 0F73150E
	s_waitcnt vmcnt(5)                                         // 000000006D2C: BF8C0F75
	v_mfma_f32_16x16x32_fp8_fp8 v[192:195], a[16:17], v[132:133], v[192:195]// 000000006D30: D3F300C0 0F030910
	buffer_load_dwordx4 a[48:51], v42, s[12:15], 0 offen       // 000000006D38: E05C1000 8083302A
	v_mfma_f32_16x16x32_fp8_fp8 v[192:195], a[18:19], v[134:135], v[192:195]// 000000006D40: D3F300C0 0F030D12
	v_mfma_f32_16x16x32_fp8_fp8 v[196:199], a[16:17], v[140:141], v[196:199]// 000000006D48: D3F300C4 0F131910
	v_mfma_f32_16x16x32_fp8_fp8 v[196:199], a[18:19], v[142:143], v[196:199]// 000000006D50: D3F300C4 0F131D12
	v_mfma_f32_16x16x32_fp8_fp8 v[200:203], a[20:21], v[132:133], v[200:203]// 000000006D58: D3F300C8 0F230914
	buffer_load_dwordx4 a[52:55], v43, s[12:15], 0 offen       // 000000006D60: E05C1000 8083342B
	v_mfma_f32_16x16x32_fp8_fp8 v[200:203], a[22:23], v[134:135], v[200:203]// 000000006D68: D3F300C8 0F230D16
	v_mfma_f32_16x16x32_fp8_fp8 v[204:207], a[20:21], v[140:141], v[204:207]// 000000006D70: D3F300CC 0F331914
	v_mfma_f32_16x16x32_fp8_fp8 v[204:207], a[22:23], v[142:143], v[204:207]// 000000006D78: D3F300CC 0F331D16
	v_mfma_f32_16x16x32_fp8_fp8 v[208:211], a[24:25], v[132:133], v[208:211]// 000000006D80: D3F300D0 0F430918
	buffer_load_dwordx4 a[56:59], v44, s[12:15], 0 offen       // 000000006D88: E05C1000 8083382C
	v_mfma_f32_16x16x32_fp8_fp8 v[208:211], a[26:27], v[134:135], v[208:211]// 000000006D90: D3F300D0 0F430D1A
	v_mfma_f32_16x16x32_fp8_fp8 v[212:215], a[24:25], v[140:141], v[212:215]// 000000006D98: D3F300D4 0F531918
	v_mfma_f32_16x16x32_fp8_fp8 v[212:215], a[26:27], v[142:143], v[212:215]// 000000006DA0: D3F300D4 0F531D1A
	v_mfma_f32_16x16x32_fp8_fp8 v[216:219], a[28:29], v[132:133], v[216:219]// 000000006DA8: D3F300D8 0F63091C
	buffer_load_dwordx4 a[60:63], v45, s[12:15], 0 offen       // 000000006DB0: E05C1000 80833C2D
	v_mfma_f32_16x16x32_fp8_fp8 v[216:219], a[30:31], v[134:135], v[216:219]// 000000006DB8: D3F300D8 0F630D1E
	v_mfma_f32_16x16x32_fp8_fp8 v[220:223], a[28:29], v[140:141], v[220:223]// 000000006DC0: D3F300DC 0F73191C
	v_mfma_f32_16x16x32_fp8_fp8 v[220:223], a[30:31], v[142:143], v[220:223]// 000000006DC8: D3F300DC 0F731D1E
	v_mul_f32_dpp v50, v23, v30 row_newbcast:0 row_mask:0xf bank_mask:0xf// 000000006DD0: 0A643CFA FF015017
	v_mov_b32_e32 v51, v50                                     // 000000006DD8: 7E660332
	v_pk_mul_f32 v[192:193], v[50:51], v[192:193]              // 000000006DDC: D3B140C0 18038132
	v_pk_mul_f32 v[194:195], v[50:51], v[194:195]              // 000000006DE4: D3B140C2 18038532
	v_pk_mul_f32 v[200:201], v[50:51], v[200:201]              // 000000006DEC: D3B140C8 18039132
	v_pk_mul_f32 v[202:203], v[50:51], v[202:203]              // 000000006DF4: D3B140CA 18039532
	v_mul_f32_dpp v50, v23, v30 row_newbcast:1 row_mask:0xf bank_mask:0xf// 000000006DFC: 0A643CFA FF015117
	v_mov_b32_e32 v51, v50                                     // 000000006E04: 7E660332
	v_pk_mul_f32 v[208:209], v[50:51], v[208:209]              // 000000006E08: D3B140D0 1803A132
	v_pk_mul_f32 v[210:211], v[50:51], v[210:211]              // 000000006E10: D3B140D2 1803A532
	v_pk_mul_f32 v[216:217], v[50:51], v[216:217]              // 000000006E18: D3B140D8 1803B132
	v_pk_mul_f32 v[218:219], v[50:51], v[218:219]              // 000000006E20: D3B140DA 1803B532
	v_mul_f32_dpp v50, v23, v31 row_newbcast:0 row_mask:0xf bank_mask:0xf// 000000006E28: 0A643EFA FF015017
	v_mov_b32_e32 v51, v50                                     // 000000006E30: 7E660332
	v_pk_mul_f32 v[196:197], v[50:51], v[196:197]              // 000000006E34: D3B140C4 18038932
	v_pk_mul_f32 v[198:199], v[50:51], v[198:199]              // 000000006E3C: D3B140C6 18038D32
	v_pk_mul_f32 v[204:205], v[50:51], v[204:205]              // 000000006E44: D3B140CC 18039932
	v_pk_mul_f32 v[206:207], v[50:51], v[206:207]              // 000000006E4C: D3B140CE 18039D32
	v_mul_f32_dpp v50, v23, v31 row_newbcast:1 row_mask:0xf bank_mask:0xf// 000000006E54: 0A643EFA FF015117
	v_mov_b32_e32 v51, v50                                     // 000000006E5C: 7E660332
	v_pk_mul_f32 v[212:213], v[50:51], v[212:213]              // 000000006E60: D3B140D4 1803A932
	v_pk_mul_f32 v[214:215], v[50:51], v[214:215]              // 000000006E68: D3B140D6 1803AD32
	v_pk_mul_f32 v[220:221], v[50:51], v[220:221]              // 000000006E70: D3B140DC 1803B932
	v_pk_mul_f32 v[222:223], v[50:51], v[222:223]              // 000000006E78: D3B140DE 1803BD32
	s_add_u32 s60, 0x200, s80                                  // 000000006E80: 803C50FF 00000200
	s_cmp_lt_u32 s60, s81                                      // 000000006E88: BF0A513C
	s_cselect_b32 s56, s56, 0                                  // 000000006E8C: 85388038
	s_cselect_b32 s78, s78, 0                                  // 000000006E90: 854E804E
	s_cselect_b32 s79, s79, 0                                  // 000000006E94: 854F804F
	s_add_u32 s12, s56, s12                                    // 000000006E98: 800C0C38
	s_addc_u32 s13, 0, s13                                     // 000000006E9C: 820D0D80
	s_add_u32 s16, s79, s16                                    // 000000006EA0: 8010104F
	s_addc_u32 s17, 0, s17                                     // 000000006EA4: 82111180
	v_mov_b32_e32 v50, v25                                     // 000000006EA8: 7E640319
	v_mov_b32_e32 v51, v25                                     // 000000006EAC: 7E660319
	v_pk_mul_f32 v[192:193], v[50:51], v[192:193]              // 000000006EB0: D3B140C0 18038132
	v_pk_mul_f32 v[194:195], v[50:51], v[194:195]              // 000000006EB8: D3B140C2 18038532
	v_pk_mul_f32 v[200:201], v[50:51], v[200:201]              // 000000006EC0: D3B140C8 18039132
	v_pk_mul_f32 v[202:203], v[50:51], v[202:203]              // 000000006EC8: D3B140CA 18039532
	v_pk_mul_f32 v[208:209], v[50:51], v[208:209]              // 000000006ED0: D3B140D0 1803A132
	v_pk_mul_f32 v[210:211], v[50:51], v[210:211]              // 000000006ED8: D3B140D2 1803A532
	v_pk_mul_f32 v[216:217], v[50:51], v[216:217]              // 000000006EE0: D3B140D8 1803B132
	v_pk_mul_f32 v[218:219], v[50:51], v[218:219]              // 000000006EE8: D3B140DA 1803B532
	v_mov_b32_e32 v50, v26                                     // 000000006EF0: 7E64031A
	v_mov_b32_e32 v51, v26                                     // 000000006EF4: 7E66031A
	v_pk_mul_f32 v[196:197], v[50:51], v[196:197]              // 000000006EF8: D3B140C4 18038932
	v_pk_mul_f32 v[198:199], v[50:51], v[198:199]              // 000000006F00: D3B140C6 18038D32
	v_pk_mul_f32 v[204:205], v[50:51], v[204:205]              // 000000006F08: D3B140CC 18039932
	v_pk_mul_f32 v[206:207], v[50:51], v[206:207]              // 000000006F10: D3B140CE 18039D32
	v_pk_mul_f32 v[212:213], v[50:51], v[212:213]              // 000000006F18: D3B140D4 1803A932
	v_pk_mul_f32 v[214:215], v[50:51], v[214:215]              // 000000006F20: D3B140D6 1803AD32
	v_pk_mul_f32 v[220:221], v[50:51], v[220:221]              // 000000006F28: D3B140DC 1803B932
	v_pk_mul_f32 v[222:223], v[50:51], v[222:223]              // 000000006F30: D3B140DE 1803BD32
	v_cmp_u_f32_e64 s[48:49], v192, v192                       // 000000006F38: D0480030 000381C0
	v_add3_u32 v46, v192, v49, 1                               // 000000006F40: D1FF002E 020663C0
	v_cndmask_b32_e64 v50, v46, v48, s[48:49]                  // 000000006F48: D1000032 00C2612E
	v_cmp_u_f32_e64 s[48:49], v193, v193                       // 000000006F50: D0480030 000383C1
	v_add3_u32 v46, v193, v49, 1                               // 000000006F58: D1FF002E 020663C1
	v_cndmask_b32_e64 v51, v46, v48, s[48:49]                  // 000000006F60: D1000033 00C2612E
	v_perm_b32 v192, v51, v50, s52                             // 000000006F68: D1ED00C0 00D26533
	v_cmp_u_f32_e64 s[48:49], v194, v194                       // 000000006F70: D0480030 000385C2
	v_add3_u32 v46, v194, v49, 1                               // 000000006F78: D1FF002E 020663C2
	v_cndmask_b32_e64 v50, v46, v48, s[48:49]                  // 000000006F80: D1000032 00C2612E
	v_cmp_u_f32_e64 s[48:49], v195, v195                       // 000000006F88: D0480030 000387C3
	v_add3_u32 v46, v195, v49, 1                               // 000000006F90: D1FF002E 020663C3
	v_cndmask_b32_e64 v51, v46, v48, s[48:49]                  // 000000006F98: D1000033 00C2612E
	v_perm_b32 v193, v51, v50, s52                             // 000000006FA0: D1ED00C1 00D26533
	v_cmp_u_f32_e64 s[48:49], v196, v196                       // 000000006FA8: D0480030 000389C4
	v_add3_u32 v46, v196, v49, 1                               // 000000006FB0: D1FF002E 020663C4
	v_cndmask_b32_e64 v50, v46, v48, s[48:49]                  // 000000006FB8: D1000032 00C2612E
	v_cmp_u_f32_e64 s[48:49], v197, v197                       // 000000006FC0: D0480030 00038BC5
	v_add3_u32 v46, v197, v49, 1                               // 000000006FC8: D1FF002E 020663C5
	v_cndmask_b32_e64 v51, v46, v48, s[48:49]                  // 000000006FD0: D1000033 00C2612E
	v_perm_b32 v194, v51, v50, s52                             // 000000006FD8: D1ED00C2 00D26533
	v_cmp_u_f32_e64 s[48:49], v198, v198                       // 000000006FE0: D0480030 00038DC6
	v_add3_u32 v46, v198, v49, 1                               // 000000006FE8: D1FF002E 020663C6
	v_cndmask_b32_e64 v50, v46, v48, s[48:49]                  // 000000006FF0: D1000032 00C2612E
	v_cmp_u_f32_e64 s[48:49], v199, v199                       // 000000006FF8: D0480030 00038FC7
	v_add3_u32 v46, v199, v49, 1                               // 000000007000: D1FF002E 020663C7
	v_cndmask_b32_e64 v51, v46, v48, s[48:49]                  // 000000007008: D1000033 00C2612E
	v_perm_b32 v195, v51, v50, s52                             // 000000007010: D1ED00C3 00D26533
	v_cmp_u_f32_e64 s[48:49], v200, v200                       // 000000007018: D0480030 000391C8
	v_add3_u32 v46, v200, v49, 1                               // 000000007020: D1FF002E 020663C8
	v_cndmask_b32_e64 v50, v46, v48, s[48:49]                  // 000000007028: D1000032 00C2612E
	v_cmp_u_f32_e64 s[48:49], v201, v201                       // 000000007030: D0480030 000393C9
	v_add3_u32 v46, v201, v49, 1                               // 000000007038: D1FF002E 020663C9
	v_cndmask_b32_e64 v51, v46, v48, s[48:49]                  // 000000007040: D1000033 00C2612E
	v_perm_b32 v196, v51, v50, s52                             // 000000007048: D1ED00C4 00D26533
	v_cmp_u_f32_e64 s[48:49], v202, v202                       // 000000007050: D0480030 000395CA
	v_add3_u32 v46, v202, v49, 1                               // 000000007058: D1FF002E 020663CA
	v_cndmask_b32_e64 v50, v46, v48, s[48:49]                  // 000000007060: D1000032 00C2612E
	v_cmp_u_f32_e64 s[48:49], v203, v203                       // 000000007068: D0480030 000397CB
	v_add3_u32 v46, v203, v49, 1                               // 000000007070: D1FF002E 020663CB
	v_cndmask_b32_e64 v51, v46, v48, s[48:49]                  // 000000007078: D1000033 00C2612E
	v_perm_b32 v197, v51, v50, s52                             // 000000007080: D1ED00C5 00D26533
	v_cmp_u_f32_e64 s[48:49], v204, v204                       // 000000007088: D0480030 000399CC
	v_add3_u32 v46, v204, v49, 1                               // 000000007090: D1FF002E 020663CC
	v_cndmask_b32_e64 v50, v46, v48, s[48:49]                  // 000000007098: D1000032 00C2612E
	v_cmp_u_f32_e64 s[48:49], v205, v205                       // 0000000070A0: D0480030 00039BCD
	v_add3_u32 v46, v205, v49, 1                               // 0000000070A8: D1FF002E 020663CD
	v_cndmask_b32_e64 v51, v46, v48, s[48:49]                  // 0000000070B0: D1000033 00C2612E
	v_perm_b32 v198, v51, v50, s52                             // 0000000070B8: D1ED00C6 00D26533
	v_cmp_u_f32_e64 s[48:49], v206, v206                       // 0000000070C0: D0480030 00039DCE
	v_add3_u32 v46, v206, v49, 1                               // 0000000070C8: D1FF002E 020663CE
	v_cndmask_b32_e64 v50, v46, v48, s[48:49]                  // 0000000070D0: D1000032 00C2612E
	v_cmp_u_f32_e64 s[48:49], v207, v207                       // 0000000070D8: D0480030 00039FCF
	v_add3_u32 v46, v207, v49, 1                               // 0000000070E0: D1FF002E 020663CF
	v_cndmask_b32_e64 v51, v46, v48, s[48:49]                  // 0000000070E8: D1000033 00C2612E
	v_perm_b32 v199, v51, v50, s52                             // 0000000070F0: D1ED00C7 00D26533
	v_cmp_u_f32_e64 s[48:49], v208, v208                       // 0000000070F8: D0480030 0003A1D0
	v_add3_u32 v46, v208, v49, 1                               // 000000007100: D1FF002E 020663D0
	v_cndmask_b32_e64 v50, v46, v48, s[48:49]                  // 000000007108: D1000032 00C2612E
	v_cmp_u_f32_e64 s[48:49], v209, v209                       // 000000007110: D0480030 0003A3D1
	v_add3_u32 v46, v209, v49, 1                               // 000000007118: D1FF002E 020663D1
	v_cndmask_b32_e64 v51, v46, v48, s[48:49]                  // 000000007120: D1000033 00C2612E
	v_perm_b32 v200, v51, v50, s52                             // 000000007128: D1ED00C8 00D26533
	v_cmp_u_f32_e64 s[48:49], v210, v210                       // 000000007130: D0480030 0003A5D2
	v_add3_u32 v46, v210, v49, 1                               // 000000007138: D1FF002E 020663D2
	v_cndmask_b32_e64 v50, v46, v48, s[48:49]                  // 000000007140: D1000032 00C2612E
	v_cmp_u_f32_e64 s[48:49], v211, v211                       // 000000007148: D0480030 0003A7D3
	v_add3_u32 v46, v211, v49, 1                               // 000000007150: D1FF002E 020663D3
	v_cndmask_b32_e64 v51, v46, v48, s[48:49]                  // 000000007158: D1000033 00C2612E
	v_perm_b32 v201, v51, v50, s52                             // 000000007160: D1ED00C9 00D26533
	v_cmp_u_f32_e64 s[48:49], v212, v212                       // 000000007168: D0480030 0003A9D4
	v_add3_u32 v46, v212, v49, 1                               // 000000007170: D1FF002E 020663D4
	v_cndmask_b32_e64 v50, v46, v48, s[48:49]                  // 000000007178: D1000032 00C2612E
	v_cmp_u_f32_e64 s[48:49], v213, v213                       // 000000007180: D0480030 0003ABD5
	v_add3_u32 v46, v213, v49, 1                               // 000000007188: D1FF002E 020663D5
	v_cndmask_b32_e64 v51, v46, v48, s[48:49]                  // 000000007190: D1000033 00C2612E
	v_perm_b32 v202, v51, v50, s52                             // 000000007198: D1ED00CA 00D26533
	v_cmp_u_f32_e64 s[48:49], v214, v214                       // 0000000071A0: D0480030 0003ADD6
	v_add3_u32 v46, v214, v49, 1                               // 0000000071A8: D1FF002E 020663D6
	v_cndmask_b32_e64 v50, v46, v48, s[48:49]                  // 0000000071B0: D1000032 00C2612E
	v_cmp_u_f32_e64 s[48:49], v215, v215                       // 0000000071B8: D0480030 0003AFD7
	v_add3_u32 v46, v215, v49, 1                               // 0000000071C0: D1FF002E 020663D7
	v_cndmask_b32_e64 v51, v46, v48, s[48:49]                  // 0000000071C8: D1000033 00C2612E
	v_perm_b32 v203, v51, v50, s52                             // 0000000071D0: D1ED00CB 00D26533
	v_cmp_u_f32_e64 s[48:49], v216, v216                       // 0000000071D8: D0480030 0003B1D8
	v_add3_u32 v46, v216, v49, 1                               // 0000000071E0: D1FF002E 020663D8
	v_cndmask_b32_e64 v50, v46, v48, s[48:49]                  // 0000000071E8: D1000032 00C2612E
	v_cmp_u_f32_e64 s[48:49], v217, v217                       // 0000000071F0: D0480030 0003B3D9
	v_add3_u32 v46, v217, v49, 1                               // 0000000071F8: D1FF002E 020663D9
	v_cndmask_b32_e64 v51, v46, v48, s[48:49]                  // 000000007200: D1000033 00C2612E
	v_perm_b32 v204, v51, v50, s52                             // 000000007208: D1ED00CC 00D26533
	v_cmp_u_f32_e64 s[48:49], v218, v218                       // 000000007210: D0480030 0003B5DA
	v_add3_u32 v46, v218, v49, 1                               // 000000007218: D1FF002E 020663DA
	v_cndmask_b32_e64 v50, v46, v48, s[48:49]                  // 000000007220: D1000032 00C2612E
	v_cmp_u_f32_e64 s[48:49], v219, v219                       // 000000007228: D0480030 0003B7DB
	v_add3_u32 v46, v219, v49, 1                               // 000000007230: D1FF002E 020663DB
	v_cndmask_b32_e64 v51, v46, v48, s[48:49]                  // 000000007238: D1000033 00C2612E
	v_perm_b32 v205, v51, v50, s52                             // 000000007240: D1ED00CD 00D26533
	v_cmp_u_f32_e64 s[48:49], v220, v220                       // 000000007248: D0480030 0003B9DC
	v_add3_u32 v46, v220, v49, 1                               // 000000007250: D1FF002E 020663DC
	v_cndmask_b32_e64 v50, v46, v48, s[48:49]                  // 000000007258: D1000032 00C2612E
	v_cmp_u_f32_e64 s[48:49], v221, v221                       // 000000007260: D0480030 0003BBDD
	v_add3_u32 v46, v221, v49, 1                               // 000000007268: D1FF002E 020663DD
	v_cndmask_b32_e64 v51, v46, v48, s[48:49]                  // 000000007270: D1000033 00C2612E
	v_perm_b32 v206, v51, v50, s52                             // 000000007278: D1ED00CE 00D26533
	v_cmp_u_f32_e64 s[48:49], v222, v222                       // 000000007280: D0480030 0003BDDE
	v_add3_u32 v46, v222, v49, 1                               // 000000007288: D1FF002E 020663DE
	v_cndmask_b32_e64 v50, v46, v48, s[48:49]                  // 000000007290: D1000032 00C2612E
	v_cmp_u_f32_e64 s[48:49], v223, v223                       // 000000007298: D0480030 0003BFDF
	v_add3_u32 v46, v223, v49, 1                               // 0000000072A0: D1FF002E 020663DF
	v_cndmask_b32_e64 v51, v46, v48, s[48:49]                  // 0000000072A8: D1000033 00C2612E
	v_perm_b32 v207, v51, v50, s52                             // 0000000072B0: D1ED00CF 00D26533
	ds_write_b64 v4, v[192:193] offset:24832                   // 0000000072B8: D89A6100 0000C004
	ds_write_b64 v4, v[194:195] offset:33536                   // 0000000072C0: D89A8300 0000C204
	ds_write_b64 v4, v[196:197] offset:27008                   // 0000000072C8: D89A6980 0000C404
	ds_write_b64 v4, v[198:199] offset:35712                   // 0000000072D0: D89A8B80 0000C604
	ds_write_b64 v4, v[200:201] offset:29184                   // 0000000072D8: D89A7200 0000C804
	ds_write_b64 v4, v[202:203] offset:37888                   // 0000000072E0: D89A9400 0000CA04
	ds_write_b64 v4, v[204:205] offset:31360                   // 0000000072E8: D89A7A80 0000CC04
	ds_write_b64 v4, v[206:207] offset:40064                   // 0000000072F0: D89A9C80 0000CE04
	s_waitcnt lgkmcnt(0)                                       // 0000000072F8: BF8CC07F
	s_barrier                                                  // 0000000072FC: BF8A0000
	ds_read_b32 v64, v5 offset:24832                           // 000000007300: D86C6100 40000005
	ds_read_b32 v65, v5 offset:29184                           // 000000007308: D86C7200 41000005
	ds_read_b32 v66, v5 offset:24864                           // 000000007310: D86C6120 42000005
	ds_read_b32 v67, v5 offset:29216                           // 000000007318: D86C7220 43000005
	ds_read_b32 v68, v5 offset:24896                           // 000000007320: D86C6140 44000005
	ds_read_b32 v69, v5 offset:29248                           // 000000007328: D86C7240 45000005
	ds_read_b32 v70, v5 offset:24928                           // 000000007330: D86C6160 46000005
	ds_read_b32 v71, v5 offset:29280                           // 000000007338: D86C7260 47000005
	ds_read_b32 v72, v5 offset:33536                           // 000000007340: D86C8300 48000005
	ds_read_b32 v73, v5 offset:37888                           // 000000007348: D86C9400 49000005
	ds_read_b32 v74, v5 offset:33568                           // 000000007350: D86C8320 4A000005
	ds_read_b32 v75, v5 offset:37920                           // 000000007358: D86C9420 4B000005
	ds_read_b32 v76, v5 offset:33600                           // 000000007360: D86C8340 4C000005
	ds_read_b32 v77, v5 offset:37952                           // 000000007368: D86C9440 4D000005
	ds_read_b32 v78, v5 offset:33632                           // 000000007370: D86C8360 4E000005
	ds_read_b32 v79, v5 offset:37984                           // 000000007378: D86C9460 4F000005
	s_waitcnt lgkmcnt(0)                                       // 000000007380: BF8CC07F
	s_setvskip s20, 0                                          // 000000007384: BF108014
	global_atomic_pk_add_bf16 v80, v64, s[8:9]                 // 000000007388: DD488000 00084050
	s_setvskip 0, 0                                            // 000000007390: BF108080
	s_setvskip s20, 0                                          // 000000007394: BF108014
	global_atomic_pk_add_bf16 v80, v65, s[8:9] offset:256      // 000000007398: DD488100 00084150
	s_setvskip 0, 0                                            // 0000000073A0: BF108080
	s_setvskip s20, 1                                          // 0000000073A4: BF108114
	global_atomic_pk_add_bf16 v82, v66, s[8:9]                 // 0000000073A8: DD488000 00084252
	s_setvskip 0, 0                                            // 0000000073B0: BF108080
	s_setvskip s20, 1                                          // 0000000073B4: BF108114
	global_atomic_pk_add_bf16 v82, v67, s[8:9] offset:256      // 0000000073B8: DD488100 00084352
	s_setvskip 0, 0                                            // 0000000073C0: BF108080
	s_setvskip s20, 2                                          // 0000000073C4: BF108214
	global_atomic_pk_add_bf16 v84, v68, s[8:9]                 // 0000000073C8: DD488000 00084454
	s_setvskip 0, 0                                            // 0000000073D0: BF108080
	s_setvskip s20, 2                                          // 0000000073D4: BF108214
	global_atomic_pk_add_bf16 v84, v69, s[8:9] offset:256      // 0000000073D8: DD488100 00084554
	s_setvskip 0, 0                                            // 0000000073E0: BF108080
	s_setvskip s20, 3                                          // 0000000073E4: BF108314
	global_atomic_pk_add_bf16 v86, v70, s[8:9]                 // 0000000073E8: DD488000 00084656
	s_setvskip 0, 0                                            // 0000000073F0: BF108080
	s_setvskip s20, 3                                          // 0000000073F4: BF108314
	global_atomic_pk_add_bf16 v86, v71, s[8:9] offset:256      // 0000000073F8: DD488100 00084756
	s_setvskip 0, 0                                            // 000000007400: BF108080
	s_setvskip s20, 4                                          // 000000007404: BF108414
	global_atomic_pk_add_bf16 v88, v72, s[8:9]                 // 000000007408: DD488000 00084858
	s_setvskip 0, 0                                            // 000000007410: BF108080
	s_setvskip s20, 4                                          // 000000007414: BF108414
	global_atomic_pk_add_bf16 v88, v73, s[8:9] offset:256      // 000000007418: DD488100 00084958
	s_setvskip 0, 0                                            // 000000007420: BF108080
	s_setvskip s20, 5                                          // 000000007424: BF108514
	global_atomic_pk_add_bf16 v90, v74, s[8:9]                 // 000000007428: DD488000 00084A5A
	s_setvskip 0, 0                                            // 000000007430: BF108080
	s_setvskip s20, 5                                          // 000000007434: BF108514
	global_atomic_pk_add_bf16 v90, v75, s[8:9] offset:256      // 000000007438: DD488100 00084B5A
	s_setvskip 0, 0                                            // 000000007440: BF108080
	s_setvskip s20, 6                                          // 000000007444: BF108614
	global_atomic_pk_add_bf16 v92, v76, s[8:9]                 // 000000007448: DD488000 00084C5C
	s_setvskip 0, 0                                            // 000000007450: BF108080
	s_setvskip s20, 6                                          // 000000007454: BF108614
	global_atomic_pk_add_bf16 v92, v77, s[8:9] offset:256      // 000000007458: DD488100 00084D5C
	s_setvskip 0, 0                                            // 000000007460: BF108080
	s_setvskip s20, 7                                          // 000000007464: BF108714
	global_atomic_pk_add_bf16 v94, v78, s[8:9]                 // 000000007468: DD488000 00084E5E
	s_setvskip 0, 0                                            // 000000007470: BF108080
	s_setvskip s20, 7                                          // 000000007474: BF108714
	global_atomic_pk_add_bf16 v94, v79, s[8:9] offset:256      // 000000007478: DD488100 00084F5E
	s_setvskip 0, 0                                            // 000000007480: BF108080
	s_add_u32 s8, s59, s8                                      // 000000007484: 8008083B
	s_addc_u32 s9, 0, s9                                       // 000000007488: 82090980
	s_addk_i32 s80, 0x100                                      // 00000000748C: B7500100
	s_cmp_lt_i32 s80, s81                                      // 000000007490: BF045150
	s_cbranch_scc0 label_0B27                                  // 000000007494: BF84F981
	s_waitcnt vmcnt(4)                                         // 000000007498: BF8C0F74
	s_barrier                                                  // 00000000749C: BF8A0000
	v_mfma_f32_16x16x32_fp8_fp8 v[224:227], a[32:33], v[128:129], 0// 0000000074A0: D3F300E0 0A030120
	buffer_load_dwordx4 a[0:3], v42, s[12:15], 0 offen         // 0000000074A8: E05C1000 8083002A
	v_mfma_f32_16x16x32_fp8_fp8 v[224:227], a[34:35], v[130:131], v[224:227]// 0000000074B0: D3F300E0 0F830522
	v_mfma_f32_16x16x32_fp8_fp8 v[228:231], a[32:33], v[136:137], 0// 0000000074B8: D3F300E4 0A031120
	buffer_load_dword v23, v6, s[16:19], 0 offen               // 0000000074C0: E0501000 80041706
	v_mfma_f32_16x16x32_fp8_fp8 v[228:231], a[34:35], v[138:139], v[228:231]// 0000000074C8: D3F300E4 0F931522
	v_mfma_f32_16x16x32_fp8_fp8 v[232:235], a[36:37], v[128:129], 0// 0000000074D0: D3F300E8 0A030124
	buffer_load_dwordx4 a[4:7], v43, s[12:15], 0 offen         // 0000000074D8: E05C1000 8083042B
	v_mfma_f32_16x16x32_fp8_fp8 v[232:235], a[38:39], v[130:131], v[232:235]// 0000000074E0: D3F300E8 0FA30526
	v_mfma_f32_16x16x32_fp8_fp8 v[236:239], a[36:37], v[136:137], 0// 0000000074E8: D3F300EC 0A031124
	v_mfma_f32_16x16x32_fp8_fp8 v[236:239], a[38:39], v[138:139], v[236:239]// 0000000074F0: D3F300EC 0FB31526
	v_mfma_f32_16x16x32_fp8_fp8 v[240:243], a[40:41], v[128:129], 0// 0000000074F8: D3F300F0 0A030128
	buffer_load_dwordx4 a[8:11], v44, s[12:15], 0 offen        // 000000007500: E05C1000 8083082C
	v_mfma_f32_16x16x32_fp8_fp8 v[240:243], a[42:43], v[130:131], v[240:243]// 000000007508: D3F300F0 0FC3052A
	v_mfma_f32_16x16x32_fp8_fp8 v[244:247], a[40:41], v[136:137], 0// 000000007510: D3F300F4 0A031128
	v_mfma_f32_16x16x32_fp8_fp8 v[244:247], a[42:43], v[138:139], v[244:247]// 000000007518: D3F300F4 0FD3152A
	v_mfma_f32_16x16x32_fp8_fp8 v[248:251], a[44:45], v[128:129], 0// 000000007520: D3F300F8 0A03012C
	buffer_load_dwordx4 a[12:15], v45, s[12:15], 0 offen       // 000000007528: E05C1000 80830C2D
	s_add_u32 s12, s78, s12                                    // 000000007530: 800C0C4E
	s_addc_u32 s13, 0, s13                                     // 000000007534: 820D0D80
	v_mfma_f32_16x16x32_fp8_fp8 v[248:251], a[46:47], v[130:131], v[248:251]// 000000007538: D3F300F8 0FE3052E
	v_mfma_f32_16x16x32_fp8_fp8 v[252:255], a[44:45], v[136:137], 0// 000000007540: D3F300FC 0A03112C
	v_mfma_f32_16x16x32_fp8_fp8 v[252:255], a[46:47], v[138:139], v[252:255]// 000000007548: D3F300FC 0FF3152E
	s_waitcnt vmcnt(5)                                         // 000000007550: BF8C0F75
	v_mfma_f32_16x16x32_fp8_fp8 v[224:227], a[48:49], v[132:133], v[224:227]// 000000007554: D3F300E0 0F830930
	buffer_load_dwordx4 a[16:19], v42, s[12:15], 0 offen       // 00000000755C: E05C1000 8083102A
	v_mfma_f32_16x16x32_fp8_fp8 v[224:227], a[50:51], v[134:135], v[224:227]// 000000007564: D3F300E0 0F830D32
	v_mfma_f32_16x16x32_fp8_fp8 v[228:231], a[48:49], v[140:141], v[228:231]// 00000000756C: D3F300E4 0F931930
	v_mfma_f32_16x16x32_fp8_fp8 v[228:231], a[50:51], v[142:143], v[228:231]// 000000007574: D3F300E4 0F931D32
	v_mfma_f32_16x16x32_fp8_fp8 v[232:235], a[52:53], v[132:133], v[232:235]// 00000000757C: D3F300E8 0FA30934
	buffer_load_dwordx4 a[20:23], v43, s[12:15], 0 offen       // 000000007584: E05C1000 8083142B
	v_mfma_f32_16x16x32_fp8_fp8 v[232:235], a[54:55], v[134:135], v[232:235]// 00000000758C: D3F300E8 0FA30D36
	v_mfma_f32_16x16x32_fp8_fp8 v[236:239], a[52:53], v[140:141], v[236:239]// 000000007594: D3F300EC 0FB31934
	v_mfma_f32_16x16x32_fp8_fp8 v[236:239], a[54:55], v[142:143], v[236:239]// 00000000759C: D3F300EC 0FB31D36
	v_mfma_f32_16x16x32_fp8_fp8 v[240:243], a[56:57], v[132:133], v[240:243]// 0000000075A4: D3F300F0 0FC30938
	buffer_load_dwordx4 a[24:27], v44, s[12:15], 0 offen       // 0000000075AC: E05C1000 8083182C
	v_mfma_f32_16x16x32_fp8_fp8 v[240:243], a[58:59], v[134:135], v[240:243]// 0000000075B4: D3F300F0 0FC30D3A
	v_mfma_f32_16x16x32_fp8_fp8 v[244:247], a[56:57], v[140:141], v[244:247]// 0000000075BC: D3F300F4 0FD31938
	v_mfma_f32_16x16x32_fp8_fp8 v[244:247], a[58:59], v[142:143], v[244:247]// 0000000075C4: D3F300F4 0FD31D3A
	v_mfma_f32_16x16x32_fp8_fp8 v[248:251], a[60:61], v[132:133], v[248:251]// 0000000075CC: D3F300F8 0FE3093C
	buffer_load_dwordx4 a[28:31], v45, s[12:15], 0 offen       // 0000000075D4: E05C1000 80831C2D
	v_mfma_f32_16x16x32_fp8_fp8 v[248:251], a[62:63], v[134:135], v[248:251]// 0000000075DC: D3F300F8 0FE30D3E
	v_mfma_f32_16x16x32_fp8_fp8 v[252:255], a[60:61], v[140:141], v[252:255]// 0000000075E4: D3F300FC 0FF3193C
	v_mfma_f32_16x16x32_fp8_fp8 v[252:255], a[62:63], v[142:143], v[252:255]// 0000000075EC: D3F300FC 0FF31D3E
	v_mul_f32_dpp v50, v24, v30 row_newbcast:0 row_mask:0xf bank_mask:0xf// 0000000075F4: 0A643CFA FF015018
	v_mov_b32_e32 v51, v50                                     // 0000000075FC: 7E660332
	v_pk_mul_f32 v[224:225], v[50:51], v[224:225]              // 000000007600: D3B140E0 1803C132
	v_pk_mul_f32 v[226:227], v[50:51], v[226:227]              // 000000007608: D3B140E2 1803C532
	v_pk_mul_f32 v[232:233], v[50:51], v[232:233]              // 000000007610: D3B140E8 1803D132
	v_pk_mul_f32 v[234:235], v[50:51], v[234:235]              // 000000007618: D3B140EA 1803D532
	v_mul_f32_dpp v50, v24, v30 row_newbcast:1 row_mask:0xf bank_mask:0xf// 000000007620: 0A643CFA FF015118
	v_mov_b32_e32 v51, v50                                     // 000000007628: 7E660332
	v_pk_mul_f32 v[240:241], v[50:51], v[240:241]              // 00000000762C: D3B140F0 1803E132
	v_pk_mul_f32 v[242:243], v[50:51], v[242:243]              // 000000007634: D3B140F2 1803E532
	v_pk_mul_f32 v[248:249], v[50:51], v[248:249]              // 00000000763C: D3B140F8 1803F132
	v_pk_mul_f32 v[250:251], v[50:51], v[250:251]              // 000000007644: D3B140FA 1803F532
	v_mul_f32_dpp v50, v24, v31 row_newbcast:0 row_mask:0xf bank_mask:0xf// 00000000764C: 0A643EFA FF015018
	v_mov_b32_e32 v51, v50                                     // 000000007654: 7E660332
	v_pk_mul_f32 v[228:229], v[50:51], v[228:229]              // 000000007658: D3B140E4 1803C932
	v_pk_mul_f32 v[230:231], v[50:51], v[230:231]              // 000000007660: D3B140E6 1803CD32
	v_pk_mul_f32 v[236:237], v[50:51], v[236:237]              // 000000007668: D3B140EC 1803D932
	v_pk_mul_f32 v[238:239], v[50:51], v[238:239]              // 000000007670: D3B140EE 1803DD32
	v_mul_f32_dpp v50, v24, v31 row_newbcast:1 row_mask:0xf bank_mask:0xf// 000000007678: 0A643EFA FF015118
	v_mov_b32_e32 v51, v50                                     // 000000007680: 7E660332
	v_pk_mul_f32 v[244:245], v[50:51], v[244:245]              // 000000007684: D3B140F4 1803E932
	v_pk_mul_f32 v[246:247], v[50:51], v[246:247]              // 00000000768C: D3B140F6 1803ED32
	v_pk_mul_f32 v[252:253], v[50:51], v[252:253]              // 000000007694: D3B140FC 1803F932
	v_pk_mul_f32 v[254:255], v[50:51], v[254:255]              // 00000000769C: D3B140FE 1803FD32
	s_add_u32 s60, 0x200, s80                                  // 0000000076A4: 803C50FF 00000200
	s_cmp_lt_u32 s60, s81                                      // 0000000076AC: BF0A513C
	s_cselect_b32 s56, s56, 0                                  // 0000000076B0: 85388038
	s_cselect_b32 s78, s78, 0                                  // 0000000076B4: 854E804E
	s_cselect_b32 s79, s79, 0                                  // 0000000076B8: 854F804F
	s_add_u32 s12, s56, s12                                    // 0000000076BC: 800C0C38
	s_addc_u32 s13, 0, s13                                     // 0000000076C0: 820D0D80
	s_add_u32 s16, s79, s16                                    // 0000000076C4: 8010104F
	s_addc_u32 s17, 0, s17                                     // 0000000076C8: 82111180
	v_mov_b32_e32 v50, v25                                     // 0000000076CC: 7E640319
	v_mov_b32_e32 v51, v25                                     // 0000000076D0: 7E660319
	v_pk_mul_f32 v[224:225], v[50:51], v[224:225]              // 0000000076D4: D3B140E0 1803C132
	v_pk_mul_f32 v[226:227], v[50:51], v[226:227]              // 0000000076DC: D3B140E2 1803C532
	v_pk_mul_f32 v[232:233], v[50:51], v[232:233]              // 0000000076E4: D3B140E8 1803D132
	v_pk_mul_f32 v[234:235], v[50:51], v[234:235]              // 0000000076EC: D3B140EA 1803D532
	v_pk_mul_f32 v[240:241], v[50:51], v[240:241]              // 0000000076F4: D3B140F0 1803E132
	v_pk_mul_f32 v[242:243], v[50:51], v[242:243]              // 0000000076FC: D3B140F2 1803E532
	v_pk_mul_f32 v[248:249], v[50:51], v[248:249]              // 000000007704: D3B140F8 1803F132
	v_pk_mul_f32 v[250:251], v[50:51], v[250:251]              // 00000000770C: D3B140FA 1803F532
	v_mov_b32_e32 v50, v26                                     // 000000007714: 7E64031A
	v_mov_b32_e32 v51, v26                                     // 000000007718: 7E66031A
	v_pk_mul_f32 v[228:229], v[50:51], v[228:229]              // 00000000771C: D3B140E4 1803C932
	v_pk_mul_f32 v[230:231], v[50:51], v[230:231]              // 000000007724: D3B140E6 1803CD32
	v_pk_mul_f32 v[236:237], v[50:51], v[236:237]              // 00000000772C: D3B140EC 1803D932
	v_pk_mul_f32 v[238:239], v[50:51], v[238:239]              // 000000007734: D3B140EE 1803DD32
	v_pk_mul_f32 v[244:245], v[50:51], v[244:245]              // 00000000773C: D3B140F4 1803E932
	v_pk_mul_f32 v[246:247], v[50:51], v[246:247]              // 000000007744: D3B140F6 1803ED32
	v_pk_mul_f32 v[252:253], v[50:51], v[252:253]              // 00000000774C: D3B140FC 1803F932
	v_pk_mul_f32 v[254:255], v[50:51], v[254:255]              // 000000007754: D3B140FE 1803FD32
	v_cmp_u_f32_e64 s[48:49], v224, v224                       // 00000000775C: D0480030 0003C1E0
	v_add3_u32 v46, v224, v49, 1                               // 000000007764: D1FF002E 020663E0
	v_cndmask_b32_e64 v50, v46, v48, s[48:49]                  // 00000000776C: D1000032 00C2612E
	v_cmp_u_f32_e64 s[48:49], v225, v225                       // 000000007774: D0480030 0003C3E1
	v_add3_u32 v46, v225, v49, 1                               // 00000000777C: D1FF002E 020663E1
	v_cndmask_b32_e64 v51, v46, v48, s[48:49]                  // 000000007784: D1000033 00C2612E
	v_perm_b32 v224, v51, v50, s52                             // 00000000778C: D1ED00E0 00D26533
	v_cmp_u_f32_e64 s[48:49], v226, v226                       // 000000007794: D0480030 0003C5E2
	v_add3_u32 v46, v226, v49, 1                               // 00000000779C: D1FF002E 020663E2
	v_cndmask_b32_e64 v50, v46, v48, s[48:49]                  // 0000000077A4: D1000032 00C2612E
	v_cmp_u_f32_e64 s[48:49], v227, v227                       // 0000000077AC: D0480030 0003C7E3
	v_add3_u32 v46, v227, v49, 1                               // 0000000077B4: D1FF002E 020663E3
	v_cndmask_b32_e64 v51, v46, v48, s[48:49]                  // 0000000077BC: D1000033 00C2612E
	v_perm_b32 v225, v51, v50, s52                             // 0000000077C4: D1ED00E1 00D26533
	v_cmp_u_f32_e64 s[48:49], v228, v228                       // 0000000077CC: D0480030 0003C9E4
	v_add3_u32 v46, v228, v49, 1                               // 0000000077D4: D1FF002E 020663E4
	v_cndmask_b32_e64 v50, v46, v48, s[48:49]                  // 0000000077DC: D1000032 00C2612E
	v_cmp_u_f32_e64 s[48:49], v229, v229                       // 0000000077E4: D0480030 0003CBE5
	v_add3_u32 v46, v229, v49, 1                               // 0000000077EC: D1FF002E 020663E5
	v_cndmask_b32_e64 v51, v46, v48, s[48:49]                  // 0000000077F4: D1000033 00C2612E
	v_perm_b32 v226, v51, v50, s52                             // 0000000077FC: D1ED00E2 00D26533
	v_cmp_u_f32_e64 s[48:49], v230, v230                       // 000000007804: D0480030 0003CDE6
	v_add3_u32 v46, v230, v49, 1                               // 00000000780C: D1FF002E 020663E6
	v_cndmask_b32_e64 v50, v46, v48, s[48:49]                  // 000000007814: D1000032 00C2612E
	v_cmp_u_f32_e64 s[48:49], v231, v231                       // 00000000781C: D0480030 0003CFE7
	v_add3_u32 v46, v231, v49, 1                               // 000000007824: D1FF002E 020663E7
	v_cndmask_b32_e64 v51, v46, v48, s[48:49]                  // 00000000782C: D1000033 00C2612E
	v_perm_b32 v227, v51, v50, s52                             // 000000007834: D1ED00E3 00D26533
	v_cmp_u_f32_e64 s[48:49], v232, v232                       // 00000000783C: D0480030 0003D1E8
	v_add3_u32 v46, v232, v49, 1                               // 000000007844: D1FF002E 020663E8
	v_cndmask_b32_e64 v50, v46, v48, s[48:49]                  // 00000000784C: D1000032 00C2612E
	v_cmp_u_f32_e64 s[48:49], v233, v233                       // 000000007854: D0480030 0003D3E9
	v_add3_u32 v46, v233, v49, 1                               // 00000000785C: D1FF002E 020663E9
	v_cndmask_b32_e64 v51, v46, v48, s[48:49]                  // 000000007864: D1000033 00C2612E
	v_perm_b32 v228, v51, v50, s52                             // 00000000786C: D1ED00E4 00D26533
	v_cmp_u_f32_e64 s[48:49], v234, v234                       // 000000007874: D0480030 0003D5EA
	v_add3_u32 v46, v234, v49, 1                               // 00000000787C: D1FF002E 020663EA
	v_cndmask_b32_e64 v50, v46, v48, s[48:49]                  // 000000007884: D1000032 00C2612E
	v_cmp_u_f32_e64 s[48:49], v235, v235                       // 00000000788C: D0480030 0003D7EB
	v_add3_u32 v46, v235, v49, 1                               // 000000007894: D1FF002E 020663EB
	v_cndmask_b32_e64 v51, v46, v48, s[48:49]                  // 00000000789C: D1000033 00C2612E
	v_perm_b32 v229, v51, v50, s52                             // 0000000078A4: D1ED00E5 00D26533
	v_cmp_u_f32_e64 s[48:49], v236, v236                       // 0000000078AC: D0480030 0003D9EC
	v_add3_u32 v46, v236, v49, 1                               // 0000000078B4: D1FF002E 020663EC
	v_cndmask_b32_e64 v50, v46, v48, s[48:49]                  // 0000000078BC: D1000032 00C2612E
	v_cmp_u_f32_e64 s[48:49], v237, v237                       // 0000000078C4: D0480030 0003DBED
	v_add3_u32 v46, v237, v49, 1                               // 0000000078CC: D1FF002E 020663ED
	v_cndmask_b32_e64 v51, v46, v48, s[48:49]                  // 0000000078D4: D1000033 00C2612E
	v_perm_b32 v230, v51, v50, s52                             // 0000000078DC: D1ED00E6 00D26533
	v_cmp_u_f32_e64 s[48:49], v238, v238                       // 0000000078E4: D0480030 0003DDEE
	v_add3_u32 v46, v238, v49, 1                               // 0000000078EC: D1FF002E 020663EE
	v_cndmask_b32_e64 v50, v46, v48, s[48:49]                  // 0000000078F4: D1000032 00C2612E
	v_cmp_u_f32_e64 s[48:49], v239, v239                       // 0000000078FC: D0480030 0003DFEF
	v_add3_u32 v46, v239, v49, 1                               // 000000007904: D1FF002E 020663EF
	v_cndmask_b32_e64 v51, v46, v48, s[48:49]                  // 00000000790C: D1000033 00C2612E
	v_perm_b32 v231, v51, v50, s52                             // 000000007914: D1ED00E7 00D26533
	v_cmp_u_f32_e64 s[48:49], v240, v240                       // 00000000791C: D0480030 0003E1F0
	v_add3_u32 v46, v240, v49, 1                               // 000000007924: D1FF002E 020663F0
	v_cndmask_b32_e64 v50, v46, v48, s[48:49]                  // 00000000792C: D1000032 00C2612E
	v_cmp_u_f32_e64 s[48:49], v241, v241                       // 000000007934: D0480030 0003E3F1
	v_add3_u32 v46, v241, v49, 1                               // 00000000793C: D1FF002E 020663F1
	v_cndmask_b32_e64 v51, v46, v48, s[48:49]                  // 000000007944: D1000033 00C2612E
	v_perm_b32 v232, v51, v50, s52                             // 00000000794C: D1ED00E8 00D26533
	v_cmp_u_f32_e64 s[48:49], v242, v242                       // 000000007954: D0480030 0003E5F2
	v_add3_u32 v46, v242, v49, 1                               // 00000000795C: D1FF002E 020663F2
	v_cndmask_b32_e64 v50, v46, v48, s[48:49]                  // 000000007964: D1000032 00C2612E
	v_cmp_u_f32_e64 s[48:49], v243, v243                       // 00000000796C: D0480030 0003E7F3
	v_add3_u32 v46, v243, v49, 1                               // 000000007974: D1FF002E 020663F3
	v_cndmask_b32_e64 v51, v46, v48, s[48:49]                  // 00000000797C: D1000033 00C2612E
	v_perm_b32 v233, v51, v50, s52                             // 000000007984: D1ED00E9 00D26533
	v_cmp_u_f32_e64 s[48:49], v244, v244                       // 00000000798C: D0480030 0003E9F4
	v_add3_u32 v46, v244, v49, 1                               // 000000007994: D1FF002E 020663F4
	v_cndmask_b32_e64 v50, v46, v48, s[48:49]                  // 00000000799C: D1000032 00C2612E
	v_cmp_u_f32_e64 s[48:49], v245, v245                       // 0000000079A4: D0480030 0003EBF5
	v_add3_u32 v46, v245, v49, 1                               // 0000000079AC: D1FF002E 020663F5
	v_cndmask_b32_e64 v51, v46, v48, s[48:49]                  // 0000000079B4: D1000033 00C2612E
	v_perm_b32 v234, v51, v50, s52                             // 0000000079BC: D1ED00EA 00D26533
	v_cmp_u_f32_e64 s[48:49], v246, v246                       // 0000000079C4: D0480030 0003EDF6
	v_add3_u32 v46, v246, v49, 1                               // 0000000079CC: D1FF002E 020663F6
	v_cndmask_b32_e64 v50, v46, v48, s[48:49]                  // 0000000079D4: D1000032 00C2612E
	v_cmp_u_f32_e64 s[48:49], v247, v247                       // 0000000079DC: D0480030 0003EFF7
	v_add3_u32 v46, v247, v49, 1                               // 0000000079E4: D1FF002E 020663F7
	v_cndmask_b32_e64 v51, v46, v48, s[48:49]                  // 0000000079EC: D1000033 00C2612E
	v_perm_b32 v235, v51, v50, s52                             // 0000000079F4: D1ED00EB 00D26533
	v_cmp_u_f32_e64 s[48:49], v248, v248                       // 0000000079FC: D0480030 0003F1F8
	v_add3_u32 v46, v248, v49, 1                               // 000000007A04: D1FF002E 020663F8
	v_cndmask_b32_e64 v50, v46, v48, s[48:49]                  // 000000007A0C: D1000032 00C2612E
	v_cmp_u_f32_e64 s[48:49], v249, v249                       // 000000007A14: D0480030 0003F3F9
	v_add3_u32 v46, v249, v49, 1                               // 000000007A1C: D1FF002E 020663F9
	v_cndmask_b32_e64 v51, v46, v48, s[48:49]                  // 000000007A24: D1000033 00C2612E
	v_perm_b32 v236, v51, v50, s52                             // 000000007A2C: D1ED00EC 00D26533
	v_cmp_u_f32_e64 s[48:49], v250, v250                       // 000000007A34: D0480030 0003F5FA
	v_add3_u32 v46, v250, v49, 1                               // 000000007A3C: D1FF002E 020663FA
	v_cndmask_b32_e64 v50, v46, v48, s[48:49]                  // 000000007A44: D1000032 00C2612E
	v_cmp_u_f32_e64 s[48:49], v251, v251                       // 000000007A4C: D0480030 0003F7FB
	v_add3_u32 v46, v251, v49, 1                               // 000000007A54: D1FF002E 020663FB
	v_cndmask_b32_e64 v51, v46, v48, s[48:49]                  // 000000007A5C: D1000033 00C2612E
	v_perm_b32 v237, v51, v50, s52                             // 000000007A64: D1ED00ED 00D26533
	v_cmp_u_f32_e64 s[48:49], v252, v252                       // 000000007A6C: D0480030 0003F9FC
	v_add3_u32 v46, v252, v49, 1                               // 000000007A74: D1FF002E 020663FC
	v_cndmask_b32_e64 v50, v46, v48, s[48:49]                  // 000000007A7C: D1000032 00C2612E
	v_cmp_u_f32_e64 s[48:49], v253, v253                       // 000000007A84: D0480030 0003FBFD
	v_add3_u32 v46, v253, v49, 1                               // 000000007A8C: D1FF002E 020663FD
	v_cndmask_b32_e64 v51, v46, v48, s[48:49]                  // 000000007A94: D1000033 00C2612E
	v_perm_b32 v238, v51, v50, s52                             // 000000007A9C: D1ED00EE 00D26533
	v_cmp_u_f32_e64 s[48:49], v254, v254                       // 000000007AA4: D0480030 0003FDFE
	v_add3_u32 v46, v254, v49, 1                               // 000000007AAC: D1FF002E 020663FE
	v_cndmask_b32_e64 v50, v46, v48, s[48:49]                  // 000000007AB4: D1000032 00C2612E
	v_cmp_u_f32_e64 s[48:49], v255, v255                       // 000000007ABC: D0480030 0003FFFF
	v_add3_u32 v46, v255, v49, 1                               // 000000007AC4: D1FF002E 020663FF
	v_cndmask_b32_e64 v51, v46, v48, s[48:49]                  // 000000007ACC: D1000033 00C2612E
	v_perm_b32 v239, v51, v50, s52                             // 000000007AD4: D1ED00EF 00D26533
	ds_write_b64 v4, v[224:225] offset:24832                   // 000000007ADC: D89A6100 0000E004
	ds_write_b64 v4, v[226:227] offset:33536                   // 000000007AE4: D89A8300 0000E204
	ds_write_b64 v4, v[228:229] offset:27008                   // 000000007AEC: D89A6980 0000E404
	ds_write_b64 v4, v[230:231] offset:35712                   // 000000007AF4: D89A8B80 0000E604
	ds_write_b64 v4, v[232:233] offset:29184                   // 000000007AFC: D89A7200 0000E804
	ds_write_b64 v4, v[234:235] offset:37888                   // 000000007B04: D89A9400 0000EA04
	ds_write_b64 v4, v[236:237] offset:31360                   // 000000007B0C: D89A7A80 0000EC04
	ds_write_b64 v4, v[238:239] offset:40064                   // 000000007B14: D89A9C80 0000EE04
	s_waitcnt lgkmcnt(0)                                       // 000000007B1C: BF8CC07F
	s_barrier                                                  // 000000007B20: BF8A0000
	ds_read_b32 v64, v5 offset:24832                           // 000000007B24: D86C6100 40000005
	ds_read_b32 v65, v5 offset:29184                           // 000000007B2C: D86C7200 41000005
	ds_read_b32 v66, v5 offset:24864                           // 000000007B34: D86C6120 42000005
	ds_read_b32 v67, v5 offset:29216                           // 000000007B3C: D86C7220 43000005
	ds_read_b32 v68, v5 offset:24896                           // 000000007B44: D86C6140 44000005
	ds_read_b32 v69, v5 offset:29248                           // 000000007B4C: D86C7240 45000005
	ds_read_b32 v70, v5 offset:24928                           // 000000007B54: D86C6160 46000005
	ds_read_b32 v71, v5 offset:29280                           // 000000007B5C: D86C7260 47000005
	ds_read_b32 v72, v5 offset:33536                           // 000000007B64: D86C8300 48000005
	ds_read_b32 v73, v5 offset:37888                           // 000000007B6C: D86C9400 49000005
	ds_read_b32 v74, v5 offset:33568                           // 000000007B74: D86C8320 4A000005
	ds_read_b32 v75, v5 offset:37920                           // 000000007B7C: D86C9420 4B000005
	ds_read_b32 v76, v5 offset:33600                           // 000000007B84: D86C8340 4C000005
	ds_read_b32 v77, v5 offset:37952                           // 000000007B8C: D86C9440 4D000005
	ds_read_b32 v78, v5 offset:33632                           // 000000007B94: D86C8360 4E000005
	ds_read_b32 v79, v5 offset:37984                           // 000000007B9C: D86C9460 4F000005
	s_waitcnt lgkmcnt(0)                                       // 000000007BA4: BF8CC07F
	s_setvskip s20, 0                                          // 000000007BA8: BF108014
	global_atomic_pk_add_bf16 v80, v64, s[8:9]                 // 000000007BAC: DD488000 00084050
	s_setvskip 0, 0                                            // 000000007BB4: BF108080
	s_setvskip s20, 0                                          // 000000007BB8: BF108014
	global_atomic_pk_add_bf16 v80, v65, s[8:9] offset:256      // 000000007BBC: DD488100 00084150
	s_setvskip 0, 0                                            // 000000007BC4: BF108080
	s_setvskip s20, 1                                          // 000000007BC8: BF108114
	global_atomic_pk_add_bf16 v82, v66, s[8:9]                 // 000000007BCC: DD488000 00084252
	s_setvskip 0, 0                                            // 000000007BD4: BF108080
	s_setvskip s20, 1                                          // 000000007BD8: BF108114
	global_atomic_pk_add_bf16 v82, v67, s[8:9] offset:256      // 000000007BDC: DD488100 00084352
	s_setvskip 0, 0                                            // 000000007BE4: BF108080
	s_setvskip s20, 2                                          // 000000007BE8: BF108214
	global_atomic_pk_add_bf16 v84, v68, s[8:9]                 // 000000007BEC: DD488000 00084454
	s_setvskip 0, 0                                            // 000000007BF4: BF108080
	s_setvskip s20, 2                                          // 000000007BF8: BF108214
	global_atomic_pk_add_bf16 v84, v69, s[8:9] offset:256      // 000000007BFC: DD488100 00084554
	s_setvskip 0, 0                                            // 000000007C04: BF108080
	s_setvskip s20, 3                                          // 000000007C08: BF108314
	global_atomic_pk_add_bf16 v86, v70, s[8:9]                 // 000000007C0C: DD488000 00084656
	s_setvskip 0, 0                                            // 000000007C14: BF108080
	s_setvskip s20, 3                                          // 000000007C18: BF108314
	global_atomic_pk_add_bf16 v86, v71, s[8:9] offset:256      // 000000007C1C: DD488100 00084756
	s_setvskip 0, 0                                            // 000000007C24: BF108080
	s_setvskip s20, 4                                          // 000000007C28: BF108414
	global_atomic_pk_add_bf16 v88, v72, s[8:9]                 // 000000007C2C: DD488000 00084858
	s_setvskip 0, 0                                            // 000000007C34: BF108080
	s_setvskip s20, 4                                          // 000000007C38: BF108414
	global_atomic_pk_add_bf16 v88, v73, s[8:9] offset:256      // 000000007C3C: DD488100 00084958
	s_setvskip 0, 0                                            // 000000007C44: BF108080
	s_setvskip s20, 5                                          // 000000007C48: BF108514
	global_atomic_pk_add_bf16 v90, v74, s[8:9]                 // 000000007C4C: DD488000 00084A5A
	s_setvskip 0, 0                                            // 000000007C54: BF108080
	s_setvskip s20, 5                                          // 000000007C58: BF108514
	global_atomic_pk_add_bf16 v90, v75, s[8:9] offset:256      // 000000007C5C: DD488100 00084B5A
	s_setvskip 0, 0                                            // 000000007C64: BF108080
	s_setvskip s20, 6                                          // 000000007C68: BF108614
	global_atomic_pk_add_bf16 v92, v76, s[8:9]                 // 000000007C6C: DD488000 00084C5C
	s_setvskip 0, 0                                            // 000000007C74: BF108080
	s_setvskip s20, 6                                          // 000000007C78: BF108614
	global_atomic_pk_add_bf16 v92, v77, s[8:9] offset:256      // 000000007C7C: DD488100 00084D5C
	s_setvskip 0, 0                                            // 000000007C84: BF108080
	s_setvskip s20, 7                                          // 000000007C88: BF108714
	global_atomic_pk_add_bf16 v94, v78, s[8:9]                 // 000000007C8C: DD488000 00084E5E
	s_setvskip 0, 0                                            // 000000007C94: BF108080
	s_setvskip s20, 7                                          // 000000007C98: BF108714
	global_atomic_pk_add_bf16 v94, v79, s[8:9] offset:256      // 000000007C9C: DD488100 00084F5E
	s_setvskip 0, 0                                            // 000000007CA4: BF108080
	s_add_u32 s8, s59, s8                                      // 000000007CA8: 8008083B
	s_addc_u32 s9, 0, s9                                       // 000000007CAC: 82090980
	s_addk_i32 s80, 0x100                                      // 000000007CB0: B7500100
	s_cmp_lt_i32 s80, s81                                      // 000000007CB4: BF045150
	s_cbranch_scc0 label_0B27                                  // 000000007CB8: BF84F778
	s_branch label_0F9D                                        // 000000007CBC: BF82FBED

0000000000007cc0 <label_13B0>:
	s_waitcnt vmcnt(0) expcnt(0) lgkmcnt(0)                    // 000000007CC0: BF8C0000
	s_add_u32 s100, s100, 1                                    // 000000007CC4: 80648164
	s_cmp_eq_u32 s96, 0                                        // 000000007CC8: BF068060
	s_cbranch_scc0 label_0039                                  // 000000007CCC: BF84EC85

0000000000007cd0 <label_13B4>:
	s_waitcnt vmcnt(0) expcnt(0) lgkmcnt(0)                    // 000000007CD0: BF8C0000
	s_endpgm                                                   // 000000007CD4: BF810000
